;; amdgpu-corpus repo=ROCm/rocFFT kind=compiled arch=gfx950 opt=O3
	.text
	.amdgcn_target "amdgcn-amd-amdhsa--gfx950"
	.amdhsa_code_object_version 6
	.protected	fft_rtc_fwd_len1701_factors_3_3_3_3_3_7_wgs_63_tpt_63_halfLds_sp_op_CI_CI_unitstride_sbrr_dirReg ; -- Begin function fft_rtc_fwd_len1701_factors_3_3_3_3_3_7_wgs_63_tpt_63_halfLds_sp_op_CI_CI_unitstride_sbrr_dirReg
	.globl	fft_rtc_fwd_len1701_factors_3_3_3_3_3_7_wgs_63_tpt_63_halfLds_sp_op_CI_CI_unitstride_sbrr_dirReg
	.p2align	8
	.type	fft_rtc_fwd_len1701_factors_3_3_3_3_3_7_wgs_63_tpt_63_halfLds_sp_op_CI_CI_unitstride_sbrr_dirReg,@function
fft_rtc_fwd_len1701_factors_3_3_3_3_3_7_wgs_63_tpt_63_halfLds_sp_op_CI_CI_unitstride_sbrr_dirReg: ; @fft_rtc_fwd_len1701_factors_3_3_3_3_3_7_wgs_63_tpt_63_halfLds_sp_op_CI_CI_unitstride_sbrr_dirReg
; %bb.0:
	s_load_dwordx4 s[8:11], s[0:1], 0x58
	s_load_dwordx4 s[4:7], s[0:1], 0x0
	;; [unrolled: 1-line block ×3, first 2 shown]
	v_mul_u32_u24_e32 v1, 0x411, v0
	v_add_u32_sdwa v4, s2, v1 dst_sel:DWORD dst_unused:UNUSED_PAD src0_sel:DWORD src1_sel:WORD_1
	v_mov_b32_e32 v2, 0
	s_waitcnt lgkmcnt(0)
	v_cmp_lt_u64_e64 s[2:3], s[6:7], 2
	v_mov_b32_e32 v5, v2
	s_and_b64 vcc, exec, s[2:3]
	v_mov_b64_e32 v[60:61], 0
	s_cbranch_vccnz .LBB0_8
; %bb.1:
	s_load_dwordx2 s[2:3], s[0:1], 0x10
	s_add_u32 s16, s14, 8
	s_addc_u32 s17, s15, 0
	s_add_u32 s18, s12, 8
	s_addc_u32 s19, s13, 0
	s_waitcnt lgkmcnt(0)
	s_add_u32 s20, s2, 8
	v_mov_b64_e32 v[60:61], 0
	s_addc_u32 s21, s3, 0
	s_mov_b64 s[22:23], 1
	v_mov_b64_e32 v[24:25], v[60:61]
.LBB0_2:                                ; =>This Inner Loop Header: Depth=1
	s_load_dwordx2 s[24:25], s[20:21], 0x0
                                        ; implicit-def: $vgpr8_vgpr9
	s_waitcnt lgkmcnt(0)
	v_or_b32_e32 v3, s25, v5
	v_cmp_ne_u64_e32 vcc, 0, v[2:3]
	s_and_saveexec_b64 s[2:3], vcc
	s_xor_b64 s[26:27], exec, s[2:3]
	s_cbranch_execz .LBB0_4
; %bb.3:                                ;   in Loop: Header=BB0_2 Depth=1
	v_cvt_f32_u32_e32 v1, s24
	v_cvt_f32_u32_e32 v3, s25
	s_sub_u32 s2, 0, s24
	s_subb_u32 s3, 0, s25
	v_fmac_f32_e32 v1, 0x4f800000, v3
	v_rcp_f32_e32 v1, v1
	s_nop 0
	v_mul_f32_e32 v1, 0x5f7ffffc, v1
	v_mul_f32_e32 v3, 0x2f800000, v1
	v_trunc_f32_e32 v3, v3
	v_fmac_f32_e32 v1, 0xcf800000, v3
	v_cvt_u32_f32_e32 v3, v3
	v_cvt_u32_f32_e32 v1, v1
	v_mul_lo_u32 v6, s2, v3
	v_mul_hi_u32 v8, s2, v1
	v_mul_lo_u32 v7, s3, v1
	v_add_u32_e32 v8, v8, v6
	v_mul_lo_u32 v10, s2, v1
	v_add_u32_e32 v11, v8, v7
	v_mul_hi_u32 v6, v1, v10
	v_mul_hi_u32 v9, v1, v11
	v_mul_lo_u32 v8, v1, v11
	v_mov_b32_e32 v7, v2
	v_lshl_add_u64 v[6:7], v[6:7], 0, v[8:9]
	v_mul_hi_u32 v9, v3, v10
	v_mul_lo_u32 v10, v3, v10
	v_add_co_u32_e32 v6, vcc, v6, v10
	v_mul_hi_u32 v8, v3, v11
	s_nop 0
	v_addc_co_u32_e32 v6, vcc, v7, v9, vcc
	v_mov_b32_e32 v7, v2
	s_nop 0
	v_addc_co_u32_e32 v9, vcc, 0, v8, vcc
	v_mul_lo_u32 v8, v3, v11
	v_lshl_add_u64 v[6:7], v[6:7], 0, v[8:9]
	v_add_co_u32_e32 v1, vcc, v1, v6
	v_mul_lo_u32 v8, s2, v1
	s_nop 0
	v_addc_co_u32_e32 v3, vcc, v3, v7, vcc
	v_mul_lo_u32 v6, s2, v3
	v_mul_hi_u32 v7, s2, v1
	v_add_u32_e32 v6, v7, v6
	v_mul_lo_u32 v7, s3, v1
	v_add_u32_e32 v10, v6, v7
	v_mul_hi_u32 v12, v3, v8
	v_mul_lo_u32 v13, v3, v8
	v_mul_hi_u32 v7, v1, v10
	v_mul_lo_u32 v6, v1, v10
	v_mul_hi_u32 v8, v1, v8
	v_mov_b32_e32 v9, v2
	v_lshl_add_u64 v[6:7], v[8:9], 0, v[6:7]
	v_add_co_u32_e32 v6, vcc, v6, v13
	v_mul_hi_u32 v11, v3, v10
	s_nop 0
	v_addc_co_u32_e32 v6, vcc, v7, v12, vcc
	v_mul_lo_u32 v8, v3, v10
	s_nop 0
	v_addc_co_u32_e32 v9, vcc, 0, v11, vcc
	v_mov_b32_e32 v7, v2
	v_lshl_add_u64 v[6:7], v[6:7], 0, v[8:9]
	v_add_co_u32_e32 v1, vcc, v1, v6
	v_mul_hi_u32 v8, v4, v1
	s_nop 0
	v_addc_co_u32_e32 v3, vcc, v3, v7, vcc
	v_mad_u64_u32 v[6:7], s[2:3], v4, v3, 0
	v_mov_b32_e32 v9, v2
	v_lshl_add_u64 v[6:7], v[8:9], 0, v[6:7]
	v_mad_u64_u32 v[10:11], s[2:3], v5, v1, 0
	v_add_co_u32_e32 v1, vcc, v6, v10
	v_mad_u64_u32 v[8:9], s[2:3], v5, v3, 0
	s_nop 0
	v_addc_co_u32_e32 v6, vcc, v7, v11, vcc
	v_mov_b32_e32 v7, v2
	s_nop 0
	v_addc_co_u32_e32 v9, vcc, 0, v9, vcc
	v_lshl_add_u64 v[6:7], v[6:7], 0, v[8:9]
	v_mul_lo_u32 v1, s25, v6
	v_mul_lo_u32 v3, s24, v7
	v_mad_u64_u32 v[8:9], s[2:3], s24, v6, 0
	v_add3_u32 v1, v9, v3, v1
	v_sub_u32_e32 v3, v5, v1
	v_mov_b32_e32 v9, s25
	v_sub_co_u32_e32 v12, vcc, v4, v8
	v_lshl_add_u64 v[10:11], v[6:7], 0, 1
	s_nop 0
	v_subb_co_u32_e64 v3, s[2:3], v3, v9, vcc
	v_subrev_co_u32_e64 v8, s[2:3], s24, v12
	v_subb_co_u32_e32 v1, vcc, v5, v1, vcc
	s_nop 0
	v_subbrev_co_u32_e64 v3, s[2:3], 0, v3, s[2:3]
	v_cmp_le_u32_e64 s[2:3], s25, v3
	v_cmp_le_u32_e32 vcc, s25, v1
	s_nop 0
	v_cndmask_b32_e64 v9, 0, -1, s[2:3]
	v_cmp_le_u32_e64 s[2:3], s24, v8
	s_nop 1
	v_cndmask_b32_e64 v8, 0, -1, s[2:3]
	v_cmp_eq_u32_e64 s[2:3], s25, v3
	s_nop 1
	v_cndmask_b32_e64 v3, v9, v8, s[2:3]
	v_lshl_add_u64 v[8:9], v[6:7], 0, 2
	v_cmp_ne_u32_e64 s[2:3], 0, v3
	s_nop 1
	v_cndmask_b32_e64 v3, v11, v9, s[2:3]
	v_cndmask_b32_e64 v9, 0, -1, vcc
	v_cmp_le_u32_e32 vcc, s24, v12
	s_nop 1
	v_cndmask_b32_e64 v11, 0, -1, vcc
	v_cmp_eq_u32_e32 vcc, s25, v1
	s_nop 1
	v_cndmask_b32_e32 v1, v9, v11, vcc
	v_cmp_ne_u32_e32 vcc, 0, v1
	v_cndmask_b32_e64 v1, v10, v8, s[2:3]
	s_nop 0
	v_cndmask_b32_e32 v9, v7, v3, vcc
	v_cndmask_b32_e32 v8, v6, v1, vcc
.LBB0_4:                                ;   in Loop: Header=BB0_2 Depth=1
	s_andn2_saveexec_b64 s[2:3], s[26:27]
	s_cbranch_execz .LBB0_6
; %bb.5:                                ;   in Loop: Header=BB0_2 Depth=1
	v_cvt_f32_u32_e32 v1, s24
	s_sub_i32 s26, 0, s24
	v_mov_b32_e32 v9, v2
	v_rcp_iflag_f32_e32 v1, v1
	s_nop 0
	v_mul_f32_e32 v1, 0x4f7ffffe, v1
	v_cvt_u32_f32_e32 v1, v1
	v_mul_lo_u32 v3, s26, v1
	v_mul_hi_u32 v3, v1, v3
	v_add_u32_e32 v1, v1, v3
	v_mul_hi_u32 v1, v4, v1
	v_mul_lo_u32 v3, v1, s24
	v_sub_u32_e32 v3, v4, v3
	v_add_u32_e32 v6, 1, v1
	v_subrev_u32_e32 v7, s24, v3
	v_cmp_le_u32_e32 vcc, s24, v3
	s_nop 1
	v_cndmask_b32_e32 v3, v3, v7, vcc
	v_cndmask_b32_e32 v1, v1, v6, vcc
	v_add_u32_e32 v6, 1, v1
	v_cmp_le_u32_e32 vcc, s24, v3
	s_nop 1
	v_cndmask_b32_e32 v8, v1, v6, vcc
.LBB0_6:                                ;   in Loop: Header=BB0_2 Depth=1
	s_or_b64 exec, exec, s[2:3]
	v_mad_u64_u32 v[6:7], s[2:3], v8, s24, 0
	s_load_dwordx2 s[2:3], s[18:19], 0x0
	v_mul_lo_u32 v1, v9, s24
	v_mul_lo_u32 v3, v8, s25
	s_load_dwordx2 s[24:25], s[16:17], 0x0
	s_add_u32 s22, s22, 1
	v_add3_u32 v1, v7, v3, v1
	v_sub_co_u32_e32 v3, vcc, v4, v6
	s_addc_u32 s23, s23, 0
	s_nop 0
	v_subb_co_u32_e32 v1, vcc, v5, v1, vcc
	s_add_u32 s16, s16, 8
	s_waitcnt lgkmcnt(0)
	v_mul_lo_u32 v4, s2, v1
	v_mul_lo_u32 v5, s3, v3
	v_mad_u64_u32 v[60:61], s[2:3], s2, v3, v[60:61]
	s_addc_u32 s17, s17, 0
	v_add3_u32 v61, v5, v61, v4
	v_mul_lo_u32 v1, s24, v1
	v_mul_lo_u32 v4, s25, v3
	v_mad_u64_u32 v[24:25], s[2:3], s24, v3, v[24:25]
	s_add_u32 s18, s18, 8
	v_add3_u32 v25, v4, v25, v1
	s_addc_u32 s19, s19, 0
	v_mov_b64_e32 v[4:5], s[6:7]
	s_add_u32 s20, s20, 8
	v_cmp_ge_u64_e32 vcc, s[22:23], v[4:5]
	s_addc_u32 s21, s21, 0
	s_cbranch_vccnz .LBB0_9
; %bb.7:                                ;   in Loop: Header=BB0_2 Depth=1
	v_mov_b64_e32 v[4:5], v[8:9]
	s_branch .LBB0_2
.LBB0_8:
	v_mov_b64_e32 v[24:25], v[60:61]
	v_mov_b64_e32 v[8:9], v[4:5]
.LBB0_9:
	s_load_dwordx2 s[0:1], s[0:1], 0x28
	s_lshl_b64 s[16:17], s[6:7], 3
	s_add_u32 s2, s14, s16
	s_addc_u32 s3, s15, s17
                                        ; implicit-def: $vgpr114
	s_waitcnt lgkmcnt(0)
	v_cmp_gt_u64_e32 vcc, s[0:1], v[8:9]
	v_cmp_le_u64_e64 s[0:1], s[0:1], v[8:9]
	s_and_saveexec_b64 s[6:7], s[0:1]
	s_xor_b64 s[0:1], exec, s[6:7]
; %bb.10:
	s_mov_b32 s6, 0x4104105
	v_mul_hi_u32 v1, v0, s6
	v_mul_u32_u24_e32 v1, 63, v1
	v_sub_u32_e32 v114, v0, v1
                                        ; implicit-def: $vgpr0
                                        ; implicit-def: $vgpr60_vgpr61
; %bb.11:
	s_or_saveexec_b64 s[6:7], s[0:1]
                                        ; implicit-def: $vgpr82
                                        ; implicit-def: $vgpr64
                                        ; implicit-def: $vgpr36
                                        ; implicit-def: $vgpr40
                                        ; implicit-def: $vgpr32
                                        ; implicit-def: $vgpr6
                                        ; implicit-def: $vgpr4
                                        ; implicit-def: $vgpr66
                                        ; implicit-def: $vgpr70
                                        ; implicit-def: $vgpr34
                                        ; implicit-def: $vgpr28
                                        ; implicit-def: $vgpr58
                                        ; implicit-def: $vgpr56
                                        ; implicit-def: $vgpr26
                                        ; implicit-def: $vgpr50
                                        ; implicit-def: $vgpr46
                                        ; implicit-def: $vgpr42
                                        ; implicit-def: $vgpr38
                                        ; implicit-def: $vgpr14
                                        ; implicit-def: $vgpr16
                                        ; implicit-def: $vgpr12
                                        ; implicit-def: $vgpr2
                                        ; implicit-def: $vgpr10
                                        ; implicit-def: $vgpr44
                                        ; implicit-def: $vgpr20
                                        ; implicit-def: $vgpr18
                                        ; implicit-def: $vgpr22
                                        ; implicit-def: $vgpr30
                                        ; implicit-def: $vgpr62
                                        ; implicit-def: $vgpr72
                                        ; implicit-def: $vgpr52
                                        ; implicit-def: $vgpr68
                                        ; implicit-def: $vgpr54
                                        ; implicit-def: $vgpr48
                                        ; implicit-def: $vgpr84
                                        ; implicit-def: $vgpr74
	s_xor_b64 exec, exec, s[6:7]
	s_cbranch_execz .LBB0_13
; %bb.12:
	s_add_u32 s0, s12, s16
	s_addc_u32 s1, s13, s17
	s_load_dwordx2 s[0:1], s[0:1], 0x0
	s_mov_b32 s12, 0x4104105
	s_waitcnt lgkmcnt(0)
	v_mul_lo_u32 v1, s1, v8
	v_mul_lo_u32 v4, s0, v9
	v_mad_u64_u32 v[2:3], s[0:1], s0, v8, 0
	v_add3_u32 v3, v3, v4, v1
	v_mul_hi_u32 v1, v0, s12
	v_mul_u32_u24_e32 v1, 63, v1
	v_sub_u32_e32 v114, v0, v1
	v_lshl_add_u64 v[0:1], v[2:3], 3, s[8:9]
	v_lshl_add_u64 v[0:1], v[60:61], 3, v[0:1]
	v_lshlrev_b32_e32 v2, 3, v114
	v_mov_b32_e32 v3, 0
	v_lshl_add_u64 v[0:1], v[0:1], 0, v[2:3]
	s_movk_i32 s0, 0x1000
	v_add_co_u32_e64 v38, s[0:1], s0, v0
	s_nop 1
	v_addc_co_u32_e64 v39, s[0:1], 0, v1, s[0:1]
	s_movk_i32 s0, 0x2000
	s_nop 0
	v_add_co_u32_e64 v44, s[0:1], s0, v0
	s_nop 1
	v_addc_co_u32_e64 v45, s[0:1], 0, v1, s[0:1]
	global_load_dwordx2 v[6:7], v[38:39], off offset:1448
	global_load_dwordx2 v[82:83], v[0:1], off
	global_load_dwordx2 v[84:85], v[0:1], off offset:504
	global_load_dwordx2 v[68:69], v[0:1], off offset:1008
	;; [unrolled: 1-line block ×16, first 2 shown]
	s_movk_i32 s0, 0x3000
	v_add_co_u32_e64 v46, s[0:1], s0, v0
	s_waitcnt vmcnt(16)
	v_mov_b32_e32 v64, v83
	v_addc_co_u32_e64 v47, s[0:1], 0, v1, s[0:1]
	global_load_dwordx2 v[32:33], v[38:39], off offset:944
	global_load_dwordx2 v[36:37], v[38:39], off offset:440
	;; [unrolled: 1-line block ×9, first 2 shown]
	s_waitcnt vmcnt(22)
	v_mov_b32_e32 v70, v67
	v_mov_b32_e32 v54, v69
	;; [unrolled: 1-line block ×3, first 2 shown]
	s_waitcnt vmcnt(13)
	v_mov_b32_e32 v72, v63
	s_waitcnt vmcnt(12)
	v_mov_b32_e32 v56, v59
	;; [unrolled: 2-line block ×5, first 2 shown]
.LBB0_13:
	s_or_b64 exec, exec, s[6:7]
	s_waitcnt vmcnt(4)
	v_pk_add_f32 v[80:81], v[36:37], v[40:41]
	v_pk_add_f32 v[78:79], v[32:33], v[48:49]
	v_mul_f32_e32 v61, 0.5, v80
	v_mul_f32_e32 v83, 0.5, v78
	v_mov_b32_e32 v60, v36
	v_pk_add_f32 v[60:61], v[82:83], v[60:61] op_sel_hi:[0,1] neg_lo:[0,1] neg_hi:[0,1]
	v_pk_add_f32 v[86:87], v[82:83], v[36:37]
	v_mov_b32_e32 v82, v32
	v_pk_add_f32 v[0:1], v[36:37], v[40:41] neg_lo:[0,1] neg_hi:[0,1]
	v_pk_add_f32 v[76:77], v[32:33], v[48:49] neg_lo:[0,1] neg_hi:[0,1]
	v_pk_add_f32 v[82:83], v[84:85], v[82:83] op_sel_hi:[0,1] neg_lo:[0,1] neg_hi:[0,1]
	v_pk_add_f32 v[84:85], v[84:85], v[32:33]
	v_mov_b32_e32 v87, v61
	v_fmac_f32_e32 v61, 0xbf5db3d7, v1
	v_mov_b32_e32 v85, v83
	v_fmac_f32_e32 v83, 0xbf5db3d7, v77
	v_mad_u32_u24 v115, v114, 12, 0
	ds_write2_b32 v115, v61, v83 offset0:2 offset1:191
	v_pk_add_f32 v[60:61], v[6:7], v[4:5]
	v_pk_add_f32 v[102:103], v[34:35], v[52:53]
	v_mul_f32_e32 v83, 0.5, v60
	v_mov_b32_e32 v82, v6
	v_mul_f32_e32 v91, 0.5, v102
	v_mov_b32_e32 v90, v52
	v_pk_add_f32 v[88:89], v[68:69], v[82:83] op_sel_hi:[0,1] neg_lo:[0,1] neg_hi:[0,1]
	v_pk_add_f32 v[68:69], v[68:69], v[6:7]
	v_pk_add_f32 v[82:83], v[6:7], v[4:5] neg_lo:[0,1] neg_hi:[0,1]
	v_pk_add_f32 v[90:91], v[66:67], v[90:91] op_sel_hi:[0,1] neg_lo:[0,1] neg_hi:[0,1]
	v_pk_add_f32 v[66:67], v[66:67], v[52:53]
	v_pk_add_f32 v[92:93], v[52:53], v[34:35] neg_lo:[0,1] neg_hi:[0,1]
	v_mov_b32_e32 v69, v89
	v_fmac_f32_e32 v89, 0xbf5db3d7, v83
	v_mov_b32_e32 v67, v91
	v_fmac_f32_e32 v91, 0xbf5db3d7, v93
	v_add_u32_e32 v32, 0x500, v115
	ds_write2_b32 v32, v89, v91 offset0:60 offset1:249
	v_mul_f32_e32 v89, 0x3f5db3d7, v1
	v_mov_b32_e32 v88, v40
	v_pk_add_f32 v[86:87], v[86:87], v[88:89]
	ds_write2_b32 v115, v86, v87 offset1:1
	v_mul_f32_e32 v87, 0x3f5db3d7, v77
	v_mov_b32_e32 v86, v48
	v_pk_add_f32 v[84:85], v[86:87], v[84:85]
	ds_write2_b32 v115, v84, v85 offset0:189 offset1:190
	v_mul_f32_e32 v85, 0x3f5db3d7, v83
	v_mov_b32_e32 v84, v4
	v_pk_add_f32 v[68:69], v[84:85], v[68:69]
	v_add_u32_e32 v1, 0x5e8, v115
	ds_write2_b32 v1, v68, v69 offset1:1
	v_mul_f32_e32 v69, 0x3f5db3d7, v93
	v_mov_b32_e32 v68, v34
	v_pk_add_f32 v[66:67], v[68:69], v[66:67]
	v_add_u32_e32 v36, 0x8dc, v115
	v_pk_add_f32 v[94:95], v[28:29], v[30:31]
	ds_write2_b32 v36, v66, v67 offset1:1
	v_mul_f32_e32 v67, 0.5, v94
	v_mov_b32_e32 v66, v30
	v_pk_add_f32 v[66:67], v[62:63], v[66:67] op_sel_hi:[0,1] neg_lo:[0,1] neg_hi:[0,1]
	v_pk_add_f32 v[62:63], v[62:63], v[30:31]
	v_pk_add_f32 v[88:89], v[30:31], v[28:29] neg_lo:[0,1] neg_hi:[0,1]
	v_mov_b32_e32 v63, v67
	v_mul_f32_e32 v69, 0x3f5db3d7, v89
	v_mov_b32_e32 v68, v28
	v_add_u32_e32 v93, 0xfc, v114
	v_pk_add_f32 v[62:63], v[68:69], v[62:63]
	v_mad_u32_u24 v94, v93, 12, 0
	v_pk_add_f32 v[100:101], v[26:27], v[22:23]
	ds_write2_b32 v94, v62, v63 offset1:1
	v_mul_f32_e32 v63, 0.5, v100
	v_mov_b32_e32 v62, v26
	v_fmac_f32_e32 v67, 0xbf5db3d7, v89
	v_pk_add_f32 v[62:63], v[58:59], v[62:63] op_sel_hi:[0,1] neg_lo:[0,1] neg_hi:[0,1]
	v_pk_add_f32 v[58:59], v[58:59], v[26:27]
	v_pk_add_f32 v[84:85], v[26:27], v[22:23] neg_lo:[0,1] neg_hi:[0,1]
	ds_write_b32 v94, v67 offset:8
	v_mov_b32_e32 v59, v63
	v_mul_f32_e32 v67, 0x3f5db3d7, v85
	v_mov_b32_e32 v66, v22
	v_add_u32_e32 v80, 0x13b, v114
	v_pk_add_f32 v[58:59], v[58:59], v[66:67]
	v_mad_u32_u24 v89, v80, 12, 0
	s_waitcnt vmcnt(2)
	v_pk_add_f32 v[98:99], v[20:21], v[18:19]
	ds_write2_b32 v89, v58, v59 offset1:1
	v_mul_f32_e32 v59, 0.5, v98
	v_mov_b32_e32 v58, v18
	v_fmac_f32_e32 v63, 0xbf5db3d7, v85
	v_pk_add_f32 v[58:59], v[50:51], v[58:59] op_sel_hi:[0,1] neg_lo:[0,1] neg_hi:[0,1]
	v_pk_add_f32 v[50:51], v[50:51], v[18:19]
	v_pk_add_f32 v[86:87], v[18:19], v[20:21] neg_lo:[0,1] neg_hi:[0,1]
	ds_write_b32 v89, v63 offset:8
	v_mov_b32_e32 v51, v59
	v_mul_f32_e32 v63, 0x3f5db3d7, v87
	v_mov_b32_e32 v62, v20
	v_add_u32_e32 v78, 0x17a, v114
	v_pk_add_f32 v[50:51], v[62:63], v[50:51]
	v_mad_u32_u24 v98, v78, 12, 0
	s_waitcnt vmcnt(1)
	;; [unrolled: 16-line block ×3, first 2 shown]
	v_pk_add_f32 v[106:107], v[12:13], v[2:3]
	ds_write2_b32 v87, v42, v43 offset1:1
	v_mul_f32_e32 v43, 0.5, v106
	v_mov_b32_e32 v42, v12
	v_fmac_f32_e32 v51, 0xbf5db3d7, v91
	v_pk_add_f32 v[42:43], v[10:11], v[42:43] op_sel_hi:[0,1] neg_lo:[0,1] neg_hi:[0,1]
	v_pk_add_f32 v[10:11], v[10:11], v[12:13]
	v_pk_add_f32 v[96:97], v[12:13], v[2:3] neg_lo:[0,1] neg_hi:[0,1]
	ds_write_b32 v87, v51 offset:8
	v_mov_b32_e32 v11, v43
	v_mul_f32_e32 v51, 0x3f5db3d7, v97
	v_mov_b32_e32 v50, v2
	v_pk_add_f32 v[10:11], v[50:51], v[10:11]
	v_add_u32_e32 v91, 0x17a0, v115
	v_mov_b32_e32 v2, v7
	ds_write2_b32 v91, v10, v11 offset1:1
	v_mov_b32_e32 v10, v7
	v_pk_add_f32 v[6:7], v[54:55], v[2:3] op_sel_hi:[0,1]
	v_mov_b32_e32 v2, v5
	v_pk_add_f32 v[110:111], v[6:7], v[2:3] op_sel_hi:[1,0]
	v_lshlrev_b32_e32 v2, 3, v114
	v_sub_u32_e32 v100, v115, v2
	v_lshlrev_b32_e32 v2, 3, v93
	v_sub_u32_e32 v65, v94, v2
	v_lshlrev_b32_e32 v2, 3, v80
	v_mul_f32_e32 v11, 0.5, v61
	v_sub_u32_e32 v71, v89, v2
	v_lshlrev_b32_e32 v2, 3, v78
	v_pk_add_f32 v[108:109], v[54:55], v[10:11] op_sel_hi:[0,1] neg_lo:[0,1] neg_hi:[0,1]
	v_mov_b32_e32 v112, v5
	v_mul_f32_e32 v113, 0x3f5db3d7, v82
	v_sub_u32_e32 v73, v98, v2
	v_lshlrev_b32_e32 v2, 3, v77
	v_fmac_f32_e32 v43, 0xbf5db3d7, v97
	v_sub_u32_e32 v75, v87, v2
	v_pk_add_f32 v[112:113], v[108:109], v[112:113] neg_lo:[0,1] neg_hi:[0,1]
	v_mul_f32_e32 v103, 0.5, v103
	v_mov_b32_e32 v102, v53
	v_mov_b32_e32 v2, v53
	ds_write_b32 v115, v43 offset:6056
	s_load_dwordx2 s[6:7], s[2:3], 0x0
	s_waitcnt lgkmcnt(0)
	; wave barrier
	s_waitcnt lgkmcnt(0)
	v_add_u32_e32 v52, 0x600, v100
	v_add_u32_e32 v40, 0x1000, v100
	;; [unrolled: 1-line block ×9, first 2 shown]
	ds_read_b32 v20, v65
	ds_read_b32 v18, v71
	;; [unrolled: 1-line block ×4, first 2 shown]
	ds_read_b32 v16, v100 offset:6552
	ds_read2_b32 v[10:11], v100 offset1:63
	ds_read2_b32 v[4:5], v52 offset0:120 offset1:183
	ds_read2_b32 v[42:43], v40 offset0:110 offset1:173
	;; [unrolled: 1-line block ×10, first 2 shown]
	s_waitcnt lgkmcnt(0)
	; wave barrier
	s_waitcnt lgkmcnt(0)
	ds_write2_b32 v1, v110, v113 offset1:1
	v_pk_add_f32 v[110:111], v[70:71], v[2:3] op_sel_hi:[0,1]
	v_pk_add_f32 v[102:103], v[70:71], v[102:103] op_sel_hi:[0,1] neg_lo:[0,1] neg_hi:[0,1]
	v_mov_b32_e32 v2, v35
	v_mov_b32_e32 v34, v35
	v_mul_f32_e32 v35, 0x3f5db3d7, v92
	v_pk_add_f32 v[110:111], v[110:111], v[2:3] op_sel_hi:[1,0]
	v_pk_add_f32 v[34:35], v[102:103], v[34:35] neg_lo:[0,1] neg_hi:[0,1]
	ds_write2_b32 v36, v110, v35 offset1:1
	v_fmac_f32_e32 v109, 0x3f5db3d7, v82
	v_fmac_f32_e32 v103, 0x3f5db3d7, v92
	v_mul_f32_e32 v35, 0.5, v81
	v_mov_b32_e32 v34, v37
	v_mov_b32_e32 v2, v37
	ds_write2_b32 v32, v109, v103 offset0:60 offset1:249
	v_pk_add_f32 v[36:37], v[64:65], v[2:3] op_sel_hi:[0,1]
	v_pk_add_f32 v[34:35], v[64:65], v[34:35] op_sel_hi:[0,1] neg_lo:[0,1] neg_hi:[0,1]
	v_mov_b32_e32 v2, v41
	v_mov_b32_e32 v102, v41
	v_mul_f32_e32 v103, 0x3f5db3d7, v0
	v_pk_add_f32 v[36:37], v[36:37], v[2:3] op_sel_hi:[1,0]
	v_pk_add_f32 v[102:103], v[34:35], v[102:103] neg_lo:[0,1] neg_hi:[0,1]
	v_mov_b32_e32 v2, v33
	ds_write2_b32 v115, v36, v103 offset1:1
	v_mov_b32_e32 v36, v33
	v_pk_add_f32 v[32:33], v[74:75], v[2:3] op_sel_hi:[0,1]
	v_mov_b32_e32 v2, v49
	v_mul_f32_e32 v37, 0.5, v79
	v_pk_add_f32 v[32:33], v[32:33], v[2:3] op_sel_hi:[1,0]
	v_fmac_f32_e32 v35, 0x3f5db3d7, v0
	v_mul_f32_e32 v1, 0.5, v95
	v_mov_b32_e32 v0, v31
	v_mov_b32_e32 v2, v31
	v_pk_add_f32 v[36:37], v[74:75], v[36:37] op_sel_hi:[0,1] neg_lo:[0,1] neg_hi:[0,1]
	v_mov_b32_e32 v102, v49
	v_mul_f32_e32 v103, 0x3f5db3d7, v76
	v_pk_add_f32 v[30:31], v[72:73], v[2:3] op_sel_hi:[0,1]
	v_pk_add_f32 v[0:1], v[72:73], v[0:1] op_sel_hi:[0,1] neg_lo:[0,1] neg_hi:[0,1]
	v_mov_b32_e32 v2, v29
	v_mov_b32_e32 v28, v29
	v_mul_f32_e32 v29, 0x3f5db3d7, v88
	v_pk_add_f32 v[102:103], v[36:37], v[102:103] neg_lo:[0,1] neg_hi:[0,1]
	v_fmac_f32_e32 v37, 0x3f5db3d7, v76
	v_pk_add_f32 v[28:29], v[0:1], v[28:29] neg_lo:[0,1] neg_hi:[0,1]
	v_fmac_f32_e32 v1, 0x3f5db3d7, v88
	ds_write2_b32 v115, v32, v103 offset0:189 offset1:190
	ds_write2_b32 v115, v35, v37 offset0:2 offset1:191
	v_pk_add_f32 v[30:31], v[30:31], v[2:3] op_sel_hi:[1,0]
	ds_write_b32 v94, v1 offset:8
	v_mul_f32_e32 v1, 0.5, v101
	v_mov_b32_e32 v0, v27
	v_mov_b32_e32 v2, v27
	v_pk_add_f32 v[26:27], v[56:57], v[2:3] op_sel_hi:[0,1]
	v_pk_add_f32 v[0:1], v[56:57], v[0:1] op_sel_hi:[0,1] neg_lo:[0,1] neg_hi:[0,1]
	v_mov_b32_e32 v2, v23
	v_mov_b32_e32 v22, v23
	v_mul_f32_e32 v23, 0x3f5db3d7, v84
	v_pk_add_f32 v[26:27], v[26:27], v[2:3] op_sel_hi:[1,0]
	v_pk_add_f32 v[22:23], v[0:1], v[22:23] neg_lo:[0,1] neg_hi:[0,1]
	v_fmac_f32_e32 v1, 0x3f5db3d7, v84
	ds_write2_b32 v94, v30, v29 offset1:1
	ds_write2_b32 v89, v26, v23 offset1:1
	v_mul_f32_e32 v23, 0.5, v99
	ds_write_b32 v89, v1 offset:8
	v_mul_f32_e32 v1, 0x3f5db3d7, v90
	v_mov_b32_e32 v22, v19
	v_mov_b32_e32 v0, v19
	v_mul_f32_e32 v27, 0x3f5db3d7, v86
	v_pk_add_f32 v[32:33], v[46:47], v[0:1] op_sel_hi:[0,1]
	v_pk_add_f32 v[22:23], v[46:47], v[22:23] op_sel_hi:[0,1] neg_lo:[0,1] neg_hi:[0,1]
	v_mov_b32_e32 v26, v21
	v_mov_b32_e32 v0, v21
	v_mul_f32_e32 v29, 0.5, v105
	v_pk_add_f32 v[32:33], v[32:33], v[0:1] op_sel_hi:[1,0]
	v_pk_add_f32 v[26:27], v[22:23], v[26:27] neg_lo:[0,1] neg_hi:[0,1]
	v_fmac_f32_e32 v23, 0x3f5db3d7, v86
	v_mov_b32_e32 v0, v15
	v_mov_b32_e32 v28, v15
	ds_write2_b32 v98, v32, v27 offset1:1
	ds_write_b32 v98, v23 offset:8
	v_pk_add_f32 v[22:23], v[38:39], v[0:1] op_sel_hi:[0,1]
	v_pk_add_f32 v[26:27], v[38:39], v[28:29] op_sel_hi:[0,1] neg_lo:[0,1] neg_hi:[0,1]
	v_mov_b32_e32 v0, v17
	v_mov_b32_e32 v2, v17
	v_pk_add_f32 v[0:1], v[26:27], v[0:1] neg_lo:[0,1] neg_hi:[0,1]
	v_mul_f32_e32 v31, 0.5, v107
	v_pk_add_f32 v[22:23], v[22:23], v[2:3] op_sel_hi:[1,0]
	v_mov_b32_e32 v0, v13
	v_mov_b32_e32 v30, v13
	v_mul_f32_e32 v35, 0x3f5db3d7, v96
	v_fmac_f32_e32 v27, 0x3f5db3d7, v90
	ds_write2_b32 v87, v22, v1 offset1:1
	ds_write_b32 v87, v27 offset:8
	v_pk_add_f32 v[0:1], v[44:45], v[0:1] op_sel_hi:[0,1]
	v_pk_add_f32 v[22:23], v[44:45], v[30:31] op_sel_hi:[0,1] neg_lo:[0,1] neg_hi:[0,1]
	v_mov_b32_e32 v2, v3
	v_mov_b32_e32 v34, v3
	v_add_u32_e32 v41, 0xbd, v114
	v_pk_add_f32 v[0:1], v[0:1], v[2:3] op_sel_hi:[1,0]
	v_pk_add_f32 v[2:3], v[22:23], v[34:35] neg_lo:[0,1] neg_hi:[0,1]
	s_movk_i32 s0, 0xab
	v_fmac_f32_e32 v23, 0x3f5db3d7, v96
	ds_write2_b32 v91, v0, v3 offset1:1
	ds_write_b32 v115, v23 offset:6056
	v_mul_lo_u16_sdwa v0, v41, s0 dst_sel:DWORD dst_unused:UNUSED_PAD src0_sel:BYTE_0 src1_sel:DWORD
	v_lshrrev_b16_e32 v13, 9, v0
	v_mul_lo_u16_e32 v0, 3, v13
	v_mov_b32_e32 v38, 4
	v_sub_u16_e32 v15, v41, v0
	v_lshlrev_b32_sdwa v0, v38, v15 dst_sel:DWORD dst_unused:UNUSED_PAD src0_sel:DWORD src1_sel:BYTE_0
	s_waitcnt lgkmcnt(0)
	; wave barrier
	s_waitcnt lgkmcnt(0)
	global_load_dwordx4 v[0:3], v0, s[4:5]
	s_mov_b32 s1, 0xaaab
	v_mul_u32_u24_sdwa v17, v93, s1 dst_sel:DWORD dst_unused:UNUSED_PAD src0_sel:WORD_0 src1_sel:DWORD
	v_lshrrev_b32_e32 v19, 17, v17
	v_mul_lo_u16_e32 v17, 3, v19
	v_sub_u16_e32 v21, v93, v17
	v_lshlrev_b32_e32 v17, 4, v21
	global_load_dwordx4 v[26:29], v17, s[4:5]
	v_mul_u32_u24_sdwa v17, v80, s1 dst_sel:DWORD dst_unused:UNUSED_PAD src0_sel:WORD_0 src1_sel:DWORD
	v_lshrrev_b32_e32 v23, 17, v17
	v_mul_lo_u16_e32 v17, 3, v23
	v_sub_u16_e32 v22, v80, v17
	v_lshlrev_b32_e32 v17, 4, v22
	global_load_dwordx4 v[30:33], v17, s[4:5]
	;; [unrolled: 6-line block ×3, first 2 shown]
	v_mul_u32_u24_sdwa v17, v77, s1 dst_sel:DWORD dst_unused:UNUSED_PAD src0_sel:WORD_0 src1_sel:DWORD
	v_lshrrev_b32_e32 v56, 17, v17
	v_mul_lo_u16_e32 v17, 3, v56
	v_sub_u16_e32 v70, v77, v17
	v_lshlrev_b32_e32 v17, 4, v70
	v_add_u32_e32 v44, 0x1f8, v114
	global_load_dwordx4 v[86:89], v17, s[4:5]
	v_mul_u32_u24_sdwa v17, v44, s1 dst_sel:DWORD dst_unused:UNUSED_PAD src0_sel:WORD_0 src1_sel:DWORD
	v_lshrrev_b32_e32 v72, 17, v17
	v_mul_lo_u16_e32 v17, 3, v72
	v_sub_u16_e32 v74, v44, v17
	v_lshlrev_b32_e32 v17, 4, v74
	v_add_u32_e32 v64, 0x7e, v114
	global_load_dwordx4 v[94:97], v17, s[4:5]
	v_mul_lo_u16_sdwa v17, v64, s0 dst_sel:DWORD dst_unused:UNUSED_PAD src0_sel:BYTE_0 src1_sel:DWORD
	v_lshrrev_b16_e32 v76, 9, v17
	v_mul_lo_u16_e32 v17, 3, v76
	v_sub_u16_e32 v79, v64, v17
	v_lshlrev_b32_sdwa v17, v38, v79 dst_sel:DWORD dst_unused:UNUSED_PAD src0_sel:DWORD src1_sel:BYTE_0
	v_add_u32_e32 v46, 63, v114
	global_load_dwordx4 v[102:105], v17, s[4:5]
	v_mul_lo_u16_sdwa v17, v46, s0 dst_sel:DWORD dst_unused:UNUSED_PAD src0_sel:BYTE_0 src1_sel:DWORD
	v_lshrrev_b16_e32 v81, 9, v17
	v_mul_lo_u16_e32 v17, 3, v81
	v_sub_u16_e32 v82, v46, v17
	v_lshlrev_b32_sdwa v17, v38, v82 dst_sel:DWORD dst_unused:UNUSED_PAD src0_sel:DWORD src1_sel:BYTE_0
	global_load_dwordx4 v[106:109], v17, s[4:5]
	v_mul_lo_u16_sdwa v17, v114, s0 dst_sel:DWORD dst_unused:UNUSED_PAD src0_sel:BYTE_0 src1_sel:DWORD
	v_lshrrev_b16_e32 v84, 9, v17
	v_mul_lo_u16_e32 v17, 3, v84
	v_sub_u16_e32 v92, v114, v17
	v_lshlrev_b32_sdwa v17, v38, v92 dst_sel:DWORD dst_unused:UNUSED_PAD src0_sel:DWORD src1_sel:BYTE_0
	global_load_dwordx4 v[110:113], v17, s[4:5]
	ds_read2_b32 v[90:91], v85 offset0:116 offset1:179
	ds_read2_b32 v[98:99], v39 offset0:108 offset1:171
	s_mov_b32 s2, 0x5040100
	s_mov_b32 s0, 0xe38f
	s_waitcnt vmcnt(8) lgkmcnt(1)
	v_mul_f32_e32 v17, v90, v1
	v_fma_f32 v101, v68, v0, -v17
	v_mul_f32_e32 v68, v68, v1
	v_fmac_f32_e32 v68, v90, v0
	s_waitcnt lgkmcnt(0)
	v_mul_f32_e32 v0, v99, v3
	v_fma_f32 v90, v55, v2, -v0
	ds_read2_b32 v[0:1], v47 offset0:106 offset1:169
	v_mul_f32_e32 v55, v55, v3
	v_fmac_f32_e32 v55, v99, v2
	s_waitcnt vmcnt(7)
	v_mul_f32_e32 v2, v91, v27
	v_fma_f32 v99, v69, v26, -v2
	v_mul_f32_e32 v69, v69, v27
	s_waitcnt lgkmcnt(0)
	v_mul_f32_e32 v2, v0, v29
	v_fmac_f32_e32 v69, v91, v26
	v_fma_f32 v91, v66, v28, -v2
	ds_read2_b32 v[2:3], v45 offset0:114 offset1:177
	v_mul_f32_e32 v66, v66, v29
	v_fmac_f32_e32 v66, v0, v28
	s_waitcnt vmcnt(6)
	v_mul_f32_e32 v0, v1, v33
	v_fma_f32 v115, v67, v32, -v0
	v_mul_f32_e32 v67, v67, v33
	s_waitcnt lgkmcnt(0)
	v_mul_f32_e32 v0, v2, v31
	v_fmac_f32_e32 v67, v1, v32
	;; [unrolled: 11-line block ×3, first 2 shown]
	v_fma_f32 v63, v60, v36, -v2
	ds_read2_b32 v[2:3], v57 offset0:112 offset1:175
	v_mul_f32_e32 v37, v60, v37
	v_fmac_f32_e32 v37, v0, v36
	s_waitcnt vmcnt(4)
	v_mul_f32_e32 v0, v1, v89
	v_fma_f32 v36, v61, v88, -v0
	s_waitcnt lgkmcnt(0)
	v_mul_f32_e32 v0, v2, v87
	v_mul_f32_e32 v60, v61, v89
	v_fma_f32 v61, v58, v86, -v0
	ds_read_b32 v0, v100 offset:6552
	v_fmac_f32_e32 v60, v1, v88
	v_mul_f32_e32 v58, v58, v87
	s_waitcnt vmcnt(3)
	v_mul_f32_e32 v1, v3, v95
	v_fmac_f32_e32 v58, v2, v86
	v_fma_f32 v86, v59, v94, -v1
	s_waitcnt lgkmcnt(0)
	v_mul_f32_e32 v1, v0, v97
	v_mul_f32_e32 v88, v16, v97
	v_fma_f32 v87, v16, v96, -v1
	v_fmac_f32_e32 v88, v0, v96
	ds_read2_b32 v[0:1], v48 offset0:118 offset1:181
	s_waitcnt vmcnt(2)
	v_mul_f32_e32 v2, v98, v105
	v_mul_f32_e32 v59, v59, v95
	v_fma_f32 v89, v54, v104, -v2
	v_fmac_f32_e32 v59, v3, v94
	s_waitcnt lgkmcnt(0)
	v_mul_f32_e32 v2, v1, v103
	v_fma_f32 v94, v51, v102, -v2
	ds_read2_b32 v[2:3], v40 offset0:110 offset1:173
	v_mul_f32_e32 v51, v51, v103
	ds_read2_b32 v[16:17], v52 offset0:120 offset1:183
	v_fmac_f32_e32 v51, v1, v102
	s_waitcnt vmcnt(1)
	v_mul_f32_e32 v1, v0, v107
	v_fma_f32 v95, v50, v106, -v1
	v_mul_f32_e32 v50, v50, v107
	v_fmac_f32_e32 v50, v0, v106
	s_waitcnt lgkmcnt(1)
	v_mul_f32_e32 v0, v3, v109
	v_fma_f32 v96, v43, v108, -v0
	v_mul_f32_e32 v43, v43, v109
	s_waitcnt vmcnt(0)
	v_mul_f32_e32 v0, v2, v113
	v_mul_f32_e32 v1, v42, v113
	v_fmac_f32_e32 v43, v3, v108
	v_fma_f32 v0, v42, v112, -v0
	v_fmac_f32_e32 v1, v2, v112
	s_waitcnt lgkmcnt(0)
	v_mul_f32_e32 v2, v17, v111
	v_mul_f32_e32 v3, v5, v111
	v_mov_b32_e32 v42, 2
	v_fma_f32 v2, v5, v110, -v2
	v_fmac_f32_e32 v3, v17, v110
	v_mul_u32_u24_e32 v5, 36, v84
	v_lshlrev_b32_sdwa v17, v42, v92 dst_sel:DWORD dst_unused:UNUSED_PAD src0_sel:DWORD src1_sel:BYTE_0
	v_add3_u32 v84, 0, v5, v17
	v_add_f32_e32 v17, v2, v0
	v_add_f32_e32 v5, v10, v2
	v_fma_f32 v10, -0.5, v17, v10
	v_sub_f32_e32 v17, v3, v1
	v_mul_f32_e32 v54, v54, v105
	v_add_f32_e32 v5, v5, v0
	v_fmamk_f32 v26, v17, 0x3f5db3d7, v10
	v_fmac_f32_e32 v10, 0xbf5db3d7, v17
	v_add_f32_e32 v17, v95, v96
	v_fmac_f32_e32 v54, v98, v104
	ds_read_b32 v92, v65
	ds_read_b32 v97, v71
	ds_read_b32 v98, v73
	ds_read_b32 v102, v75
	ds_read2_b32 v[30:31], v100 offset1:63
	ds_read2_b32 v[28:29], v100 offset0:126 offset1:189
	s_waitcnt lgkmcnt(0)
	; wave barrier
	s_waitcnt lgkmcnt(0)
	ds_write2_b32 v84, v5, v26 offset1:3
	v_add_f32_e32 v5, v11, v95
	v_fmac_f32_e32 v11, -0.5, v17
	v_mul_u32_u24_e32 v17, 36, v81
	v_lshlrev_b32_sdwa v26, v42, v82 dst_sel:DWORD dst_unused:UNUSED_PAD src0_sel:DWORD src1_sel:BYTE_0
	ds_write_b32 v84, v10 offset:24
	v_sub_f32_e32 v10, v50, v43
	v_add3_u32 v81, 0, v17, v26
	v_add_f32_e32 v5, v5, v96
	v_fmamk_f32 v17, v10, 0x3f5db3d7, v11
	ds_write2_b32 v81, v5, v17 offset1:3
	v_fmac_f32_e32 v11, 0xbf5db3d7, v10
	v_mul_u32_u24_e32 v5, 36, v76
	v_lshlrev_b32_sdwa v10, v42, v79 dst_sel:DWORD dst_unused:UNUSED_PAD src0_sel:DWORD src1_sel:BYTE_0
	v_add3_u32 v76, 0, v5, v10
	v_add_f32_e32 v5, v94, v89
	v_fma_f32 v5, -0.5, v5, v6
	v_add_f32_e32 v6, v6, v94
	v_sub_f32_e32 v10, v51, v54
	ds_write_b32 v81, v11 offset:24
	v_add_f32_e32 v6, v6, v89
	v_fmamk_f32 v11, v10, 0x3f5db3d7, v5
	ds_write2_b32 v76, v6, v11 offset1:3
	v_fmac_f32_e32 v5, 0xbf5db3d7, v10
	v_add_f32_e32 v6, v7, v101
	v_add_f32_e32 v10, v101, v90
	v_fmac_f32_e32 v7, -0.5, v10
	v_mul_u32_u24_e32 v10, 36, v13
	v_lshlrev_b32_sdwa v11, v42, v15 dst_sel:DWORD dst_unused:UNUSED_PAD src0_sel:DWORD src1_sel:BYTE_0
	ds_write_b32 v76, v5 offset:24
	v_add_f32_e32 v5, v6, v90
	v_sub_f32_e32 v6, v68, v55
	v_add3_u32 v79, 0, v10, v11
	v_fmamk_f32 v10, v6, 0x3f5db3d7, v7
	v_fmac_f32_e32 v7, 0xbf5db3d7, v6
	v_add_f32_e32 v6, v99, v91
	ds_write2_b32 v79, v5, v10 offset1:3
	v_add_f32_e32 v5, v20, v99
	v_fmac_f32_e32 v20, -0.5, v6
	v_perm_b32 v6, v23, v19, s2
	v_pk_mul_lo_u16 v6, v6, 36 op_sel_hi:[1,0]
	ds_write_b32 v79, v7 offset:24
	v_lshlrev_b32_e32 v7, 2, v21
	v_and_b32_e32 v10, 0xfffc, v6
	v_add3_u32 v82, 0, v10, v7
	v_sub_f32_e32 v7, v69, v66
	v_add_f32_e32 v5, v5, v91
	v_fmamk_f32 v10, v7, 0x3f5db3d7, v20
	v_fmac_f32_e32 v20, 0xbf5db3d7, v7
	v_add_f32_e32 v7, v116, v115
	ds_write2_b32 v82, v5, v10 offset1:3
	v_add_f32_e32 v5, v18, v116
	v_fmac_f32_e32 v18, -0.5, v7
	v_lshrrev_b32_e32 v6, 16, v6
	v_lshlrev_b32_e32 v7, 2, v22
	v_add3_u32 v103, 0, v6, v7
	v_sub_f32_e32 v6, v62, v67
	v_add_f32_e32 v5, v5, v115
	v_fmamk_f32 v7, v6, 0x3f5db3d7, v18
	v_fmac_f32_e32 v18, 0xbf5db3d7, v6
	v_add_f32_e32 v6, v117, v63
	ds_write_b32 v82, v20 offset:24
	ds_write2_b32 v103, v5, v7 offset1:3
	v_add_f32_e32 v5, v14, v117
	v_fmac_f32_e32 v14, -0.5, v6
	v_perm_b32 v6, v56, v49, s2
	v_pk_mul_lo_u16 v6, v6, 36 op_sel_hi:[1,0]
	v_lshlrev_b32_e32 v7, 2, v53
	v_and_b32_e32 v10, 0xfffc, v6
	v_add3_u32 v49, 0, v10, v7
	v_sub_f32_e32 v7, v35, v37
	v_add_f32_e32 v5, v5, v63
	v_fmamk_f32 v10, v7, 0x3f5db3d7, v14
	v_fmac_f32_e32 v14, 0xbf5db3d7, v7
	v_add_f32_e32 v7, v61, v36
	ds_write_b32 v103, v18 offset:24
	ds_write2_b32 v49, v5, v10 offset1:3
	v_add_f32_e32 v5, v12, v61
	v_fmac_f32_e32 v12, -0.5, v7
	v_lshrrev_b32_e32 v6, 16, v6
	v_lshlrev_b32_e32 v7, 2, v70
	v_add3_u32 v53, 0, v6, v7
	v_sub_f32_e32 v6, v58, v60
	v_add_f32_e32 v5, v5, v36
	v_fmamk_f32 v7, v6, 0x3f5db3d7, v12
	ds_write_b32 v49, v14 offset:24
	ds_write2_b32 v53, v5, v7 offset1:3
	v_add_f32_e32 v5, v30, v3
	v_sub_f32_e32 v70, v2, v0
	v_add_f32_e32 v2, v86, v87
	v_add_f32_e32 v56, v5, v1
	;; [unrolled: 1-line block ×4, first 2 shown]
	v_fmac_f32_e32 v4, -0.5, v2
	v_sub_f32_e32 v2, v59, v88
	v_fmamk_f32 v3, v2, 0x3f5db3d7, v4
	v_fmac_f32_e32 v4, 0xbf5db3d7, v2
	v_fma_f32 v30, -0.5, v1, v30
	v_mul_u32_u24_e32 v1, 36, v72
	v_lshlrev_b32_e32 v2, 2, v74
	v_fmac_f32_e32 v12, 0xbf5db3d7, v6
	v_add_f32_e32 v0, v0, v87
	v_add3_u32 v72, 0, v1, v2
	v_fmamk_f32 v74, v70, 0xbf5db3d7, v30
	v_fmac_f32_e32 v30, 0x3f5db3d7, v70
	ds_write_b32 v53, v12 offset:24
	ds_write2_b32 v72, v0, v3 offset1:3
	ds_write_b32 v72, v4 offset:24
	s_waitcnt lgkmcnt(0)
	; wave barrier
	s_waitcnt lgkmcnt(0)
	ds_read2_b32 v[4:5], v100 offset1:63
	ds_read_b32 v34, v65
	ds_read_b32 v33, v71
	;; [unrolled: 1-line block ×4, first 2 shown]
	ds_read_b32 v128, v100 offset:6552
	ds_read2_b32 v[0:1], v52 offset0:120 offset1:183
	ds_read2_b32 v[10:11], v40 offset0:110 offset1:173
	;; [unrolled: 1-line block ×10, first 2 shown]
	s_waitcnt lgkmcnt(0)
	; wave barrier
	s_waitcnt lgkmcnt(0)
	ds_write_b32 v84, v30 offset:24
	v_add_f32_e32 v30, v31, v50
	v_add_f32_e32 v30, v30, v43
	;; [unrolled: 1-line block ×3, first 2 shown]
	v_fmac_f32_e32 v31, -0.5, v43
	v_sub_f32_e32 v43, v95, v96
	v_fmamk_f32 v50, v43, 0xbf5db3d7, v31
	v_fmac_f32_e32 v31, 0x3f5db3d7, v43
	v_add_f32_e32 v43, v51, v54
	ds_write2_b32 v84, v56, v74 offset1:3
	ds_write2_b32 v81, v30, v50 offset1:3
	v_add_f32_e32 v30, v28, v51
	v_sub_f32_e32 v50, v94, v89
	v_fma_f32 v28, -0.5, v43, v28
	v_fmamk_f32 v43, v50, 0xbf5db3d7, v28
	v_fmac_f32_e32 v28, 0x3f5db3d7, v50
	v_add_f32_e32 v50, v29, v68
	v_add_f32_e32 v51, v68, v55
	;; [unrolled: 1-line block ×3, first 2 shown]
	v_fmac_f32_e32 v29, -0.5, v51
	v_sub_f32_e32 v51, v101, v90
	v_add_f32_e32 v55, v59, v88
	v_add_f32_e32 v30, v30, v54
	v_fmamk_f32 v54, v51, 0xbf5db3d7, v29
	v_fmac_f32_e32 v29, 0x3f5db3d7, v51
	v_add_f32_e32 v51, v16, v59
	v_fmac_f32_e32 v16, -0.5, v55
	v_sub_f32_e32 v55, v86, v87
	v_add_f32_e32 v59, v69, v66
	v_fmamk_f32 v56, v55, 0xbf5db3d7, v16
	v_fmac_f32_e32 v16, 0x3f5db3d7, v55
	v_add_f32_e32 v55, v92, v69
	v_fmac_f32_e32 v92, -0.5, v59
	v_sub_f32_e32 v59, v99, v91
	v_add_f32_e32 v55, v55, v66
	v_fmamk_f32 v66, v59, 0xbf5db3d7, v92
	v_fmac_f32_e32 v92, 0x3f5db3d7, v59
	v_add_f32_e32 v59, v97, v62
	v_add_f32_e32 v62, v62, v67
	v_fmac_f32_e32 v97, -0.5, v62
	v_sub_f32_e32 v62, v116, v115
	v_add_f32_e32 v59, v59, v67
	v_fmamk_f32 v67, v62, 0xbf5db3d7, v97
	v_fmac_f32_e32 v97, 0x3f5db3d7, v62
	v_add_f32_e32 v62, v98, v35
	;; [unrolled: 7-line block ×3, first 2 shown]
	v_add_f32_e32 v58, v58, v60
	v_fmac_f32_e32 v102, -0.5, v58
	v_sub_f32_e32 v36, v61, v36
	v_add_f32_e32 v51, v51, v88
	v_add_f32_e32 v35, v35, v60
	v_fmamk_f32 v58, v36, 0xbf5db3d7, v102
	v_fmac_f32_e32 v102, 0x3f5db3d7, v36
	ds_write_b32 v81, v31 offset:24
	ds_write2_b32 v76, v30, v43 offset1:3
	ds_write_b32 v76, v28 offset:24
	ds_write2_b32 v79, v50, v54 offset1:3
	;; [unrolled: 2-line block ×7, first 2 shown]
	ds_write_b32 v72, v16 offset:24
	v_mul_u32_u24_sdwa v16, v93, s0 dst_sel:DWORD dst_unused:UNUSED_PAD src0_sel:WORD_0 src1_sel:DWORD
	v_lshrrev_b32_e32 v16, 19, v16
	v_mul_lo_u16_e32 v28, 9, v16
	v_mul_u32_u24_sdwa v36, v80, s0 dst_sel:DWORD dst_unused:UNUSED_PAD src0_sel:WORD_0 src1_sel:DWORD
	v_sub_u16_e32 v35, v93, v28
	v_lshrrev_b32_e32 v36, 19, v36
	v_lshlrev_b32_e32 v28, 4, v35
	v_mul_lo_u16_e32 v37, 9, v36
	s_waitcnt lgkmcnt(0)
	; wave barrier
	s_waitcnt lgkmcnt(0)
	global_load_dwordx4 v[28:31], v28, s[4:5] offset:48
	v_sub_u16_e32 v37, v80, v37
	v_lshlrev_b32_e32 v43, 4, v37
	global_load_dwordx4 v[86:89], v43, s[4:5] offset:48
	v_mul_u32_u24_sdwa v43, v78, s0 dst_sel:DWORD dst_unused:UNUSED_PAD src0_sel:WORD_0 src1_sel:DWORD
	v_lshrrev_b32_e32 v43, 19, v43
	v_mul_lo_u16_e32 v49, 9, v43
	v_sub_u16_e32 v49, v78, v49
	v_lshlrev_b32_e32 v50, 4, v49
	global_load_dwordx4 v[94:97], v50, s[4:5] offset:48
	v_mul_u32_u24_sdwa v50, v77, s0 dst_sel:DWORD dst_unused:UNUSED_PAD src0_sel:WORD_0 src1_sel:DWORD
	v_lshrrev_b32_e32 v50, 19, v50
	v_mul_lo_u16_e32 v51, 9, v50
	;; [unrolled: 6-line block ×3, first 2 shown]
	v_sub_u16_e32 v54, v44, v54
	v_lshlrev_b32_e32 v55, 4, v54
	global_load_dwordx4 v[106:109], v55, s[4:5] offset:48
	v_mov_b32_e32 v55, 57
	v_mul_lo_u16_sdwa v56, v41, v55 dst_sel:DWORD dst_unused:UNUSED_PAD src0_sel:BYTE_0 src1_sel:DWORD
	v_lshrrev_b16_e32 v92, 9, v56
	v_mul_lo_u16_e32 v56, 9, v92
	v_sub_u16_e32 v98, v41, v56
	v_lshlrev_b32_sdwa v56, v38, v98 dst_sel:DWORD dst_unused:UNUSED_PAD src0_sel:DWORD src1_sel:BYTE_0
	global_load_dwordx4 v[110:113], v56, s[4:5] offset:48
	v_mul_lo_u16_sdwa v56, v64, v55 dst_sel:DWORD dst_unused:UNUSED_PAD src0_sel:BYTE_0 src1_sel:DWORD
	v_lshrrev_b16_e32 v99, 9, v56
	v_mul_lo_u16_e32 v56, 9, v99
	v_sub_u16_e32 v101, v64, v56
	v_lshlrev_b32_sdwa v56, v38, v101 dst_sel:DWORD dst_unused:UNUSED_PAD src0_sel:DWORD src1_sel:BYTE_0
	global_load_dwordx4 v[116:119], v56, s[4:5] offset:48
	;; [unrolled: 6-line block ×4, first 2 shown]
	ds_read2_b32 v[90:91], v85 offset0:116 offset1:179
	ds_read2_b32 v[62:63], v47 offset0:106 offset1:169
	s_movk_i32 s0, 0x2f69
	s_waitcnt vmcnt(8) lgkmcnt(1)
	v_mul_f32_e32 v55, v91, v29
	v_mul_f32_e32 v58, v15, v29
	v_fma_f32 v55, v15, v28, -v55
	v_fmac_f32_e32 v58, v91, v28
	ds_read2_b32 v[28:29], v45 offset0:114 offset1:177
	s_waitcnt lgkmcnt(1)
	v_mul_f32_e32 v15, v62, v31
	v_fma_f32 v59, v26, v30, -v15
	v_mul_f32_e32 v66, v26, v31
	s_waitcnt vmcnt(7)
	v_mul_f32_e32 v15, v63, v89
	v_fmac_f32_e32 v66, v62, v30
	v_fma_f32 v56, v27, v88, -v15
	v_mul_f32_e32 v62, v27, v89
	s_waitcnt lgkmcnt(0)
	v_mul_f32_e32 v15, v28, v87
	ds_read2_b32 v[26:27], v83 offset0:104 offset1:167
	v_fma_f32 v61, v22, v86, -v15
	s_waitcnt vmcnt(6)
	v_mul_f32_e32 v15, v29, v95
	v_mul_f32_e32 v70, v22, v87
	v_fma_f32 v60, v23, v94, -v15
	v_mul_f32_e32 v67, v23, v95
	ds_read2_b32 v[22:23], v57 offset0:112 offset1:175
	s_waitcnt lgkmcnt(1)
	v_mul_f32_e32 v15, v26, v97
	v_fma_f32 v68, v20, v96, -v15
	s_waitcnt vmcnt(5)
	v_mul_f32_e32 v15, v27, v105
	v_fmac_f32_e32 v62, v63, v88
	v_fma_f32 v63, v21, v104, -v15
	s_waitcnt lgkmcnt(0)
	v_mul_f32_e32 v15, v22, v103
	v_fma_f32 v74, v18, v102, -v15
	ds_read_b32 v15, v100 offset:6552
	v_mul_f32_e32 v82, v18, v103
	s_waitcnt vmcnt(4)
	v_mul_f32_e32 v18, v23, v107
	v_fma_f32 v69, v19, v106, -v18
	v_mul_f32_e32 v79, v19, v107
	s_waitcnt lgkmcnt(0)
	v_mul_f32_e32 v18, v15, v109
	v_fma_f32 v81, v128, v108, -v18
	ds_read2_b32 v[18:19], v39 offset0:108 offset1:171
	v_mul_f32_e32 v84, v128, v109
	v_fmac_f32_e32 v84, v15, v108
	s_waitcnt vmcnt(3)
	v_mul_f32_e32 v15, v90, v111
	v_fmac_f32_e32 v70, v28, v86
	v_fma_f32 v86, v14, v110, -v15
	v_mul_f32_e32 v87, v14, v111
	s_waitcnt lgkmcnt(0)
	v_mul_f32_e32 v14, v19, v113
	v_fma_f32 v88, v13, v112, -v14
	ds_read2_b32 v[14:15], v48 offset0:118 offset1:181
	v_mul_f32_e32 v89, v13, v113
	s_waitcnt vmcnt(2)
	v_mul_f32_e32 v13, v18, v119
	v_fmac_f32_e32 v87, v90, v110
	v_fma_f32 v90, v12, v118, -v13
	v_mul_f32_e32 v91, v12, v119
	s_waitcnt lgkmcnt(0)
	v_mul_f32_e32 v12, v15, v117
	v_fmac_f32_e32 v67, v29, v94
	v_fma_f32 v94, v7, v116, -v12
	ds_read2_b32 v[12:13], v40 offset0:110 offset1:173
	v_mul_f32_e32 v76, v20, v97
	v_mul_f32_e32 v95, v7, v117
	s_waitcnt vmcnt(1)
	v_mul_f32_e32 v7, v14, v121
	v_fmac_f32_e32 v76, v26, v96
	v_fma_f32 v96, v6, v120, -v7
	v_mul_f32_e32 v97, v6, v121
	s_waitcnt lgkmcnt(0)
	v_mul_f32_e32 v6, v13, v123
	v_fmac_f32_e32 v82, v22, v102
	v_fma_f32 v102, v11, v122, -v6
	ds_read2_b32 v[6:7], v52 offset0:120 offset1:183
	v_mul_f32_e32 v103, v11, v123
	s_waitcnt vmcnt(0)
	v_mul_f32_e32 v11, v12, v127
	v_fma_f32 v11, v10, v126, -v11
	v_mul_f32_e32 v10, v10, v127
	v_fmac_f32_e32 v10, v12, v126
	s_waitcnt lgkmcnt(0)
	v_mul_f32_e32 v12, v7, v125
	v_fma_f32 v12, v1, v124, -v12
	v_mul_f32_e32 v1, v1, v125
	v_mul_f32_e32 v72, v21, v105
	v_fmac_f32_e32 v103, v13, v122
	v_fmac_f32_e32 v1, v7, v124
	v_mul_u32_u24_e32 v7, 0x6c, v130
	v_lshlrev_b32_sdwa v13, v42, v131 dst_sel:DWORD dst_unused:UNUSED_PAD src0_sel:DWORD src1_sel:BYTE_0
	v_fmac_f32_e32 v72, v27, v104
	v_add3_u32 v104, 0, v7, v13
	v_add_f32_e32 v13, v12, v11
	v_add_f32_e32 v7, v4, v12
	v_fma_f32 v4, -0.5, v13, v4
	v_sub_f32_e32 v13, v1, v10
	v_fmac_f32_e32 v97, v14, v120
	v_add_f32_e32 v7, v7, v11
	v_fmamk_f32 v14, v13, 0x3f5db3d7, v4
	v_fmac_f32_e32 v4, 0xbf5db3d7, v13
	v_add_f32_e32 v13, v96, v102
	v_fmac_f32_e32 v79, v23, v106
	ds_read_b32 v105, v65
	ds_read_b32 v106, v71
	;; [unrolled: 1-line block ×4, first 2 shown]
	ds_read2_b32 v[30:31], v100 offset1:63
	ds_read2_b32 v[28:29], v100 offset0:126 offset1:189
	s_waitcnt lgkmcnt(0)
	; wave barrier
	s_waitcnt lgkmcnt(0)
	ds_write2_b32 v104, v7, v14 offset1:9
	v_add_f32_e32 v7, v5, v96
	v_fmac_f32_e32 v5, -0.5, v13
	ds_write_b32 v104, v4 offset:72
	v_mul_u32_u24_e32 v4, 0x6c, v115
	v_lshlrev_b32_sdwa v13, v42, v129 dst_sel:DWORD dst_unused:UNUSED_PAD src0_sel:DWORD src1_sel:BYTE_0
	v_add3_u32 v109, 0, v4, v13
	v_add_f32_e32 v4, v7, v102
	v_sub_f32_e32 v7, v97, v103
	v_fmamk_f32 v13, v7, 0x3f5db3d7, v5
	v_fmac_f32_e32 v5, 0xbf5db3d7, v7
	ds_write2_b32 v109, v4, v13 offset1:9
	ds_write_b32 v109, v5 offset:72
	v_mul_u32_u24_e32 v4, 0x6c, v99
	v_lshlrev_b32_sdwa v5, v42, v101 dst_sel:DWORD dst_unused:UNUSED_PAD src0_sel:DWORD src1_sel:BYTE_0
	v_fmac_f32_e32 v91, v18, v118
	v_fmac_f32_e32 v95, v15, v116
	v_add3_u32 v99, 0, v4, v5
	v_add_f32_e32 v5, v94, v90
	v_add_f32_e32 v4, v2, v94
	v_fma_f32 v2, -0.5, v5, v2
	v_sub_f32_e32 v5, v95, v91
	v_add_f32_e32 v4, v4, v90
	v_fmamk_f32 v7, v5, 0x3f5db3d7, v2
	v_fmac_f32_e32 v2, 0xbf5db3d7, v5
	v_add_f32_e32 v5, v86, v88
	v_fmac_f32_e32 v89, v19, v112
	ds_write2_b32 v99, v4, v7 offset1:9
	v_add_f32_e32 v4, v3, v86
	v_fmac_f32_e32 v3, -0.5, v5
	ds_write_b32 v99, v2 offset:72
	v_mul_u32_u24_e32 v2, 0x6c, v92
	v_lshlrev_b32_sdwa v5, v42, v98 dst_sel:DWORD dst_unused:UNUSED_PAD src0_sel:DWORD src1_sel:BYTE_0
	v_add3_u32 v92, 0, v2, v5
	v_add_f32_e32 v2, v4, v88
	v_sub_f32_e32 v4, v87, v89
	v_fmamk_f32 v5, v4, 0x3f5db3d7, v3
	v_fmac_f32_e32 v3, 0xbf5db3d7, v4
	ds_write_b32 v92, v3 offset:72
	v_add_f32_e32 v3, v55, v59
	ds_write2_b32 v92, v2, v5 offset1:9
	v_add_f32_e32 v2, v34, v55
	v_fmac_f32_e32 v34, -0.5, v3
	v_mul_u32_u24_e32 v3, 0x6c, v16
	v_lshlrev_b32_e32 v4, 2, v35
	v_add3_u32 v35, 0, v3, v4
	v_sub_f32_e32 v3, v58, v66
	v_add_f32_e32 v2, v2, v59
	v_fmamk_f32 v4, v3, 0x3f5db3d7, v34
	v_fmac_f32_e32 v34, 0xbf5db3d7, v3
	v_add_f32_e32 v3, v61, v56
	ds_write2_b32 v35, v2, v4 offset1:9
	v_add_f32_e32 v2, v33, v61
	v_fmac_f32_e32 v33, -0.5, v3
	v_mul_u32_u24_e32 v3, 0x6c, v36
	v_lshlrev_b32_e32 v4, 2, v37
	ds_write_b32 v35, v34 offset:72
	v_add3_u32 v34, 0, v3, v4
	v_sub_f32_e32 v3, v70, v62
	v_add_f32_e32 v2, v2, v56
	v_fmamk_f32 v4, v3, 0x3f5db3d7, v33
	v_fmac_f32_e32 v33, 0xbf5db3d7, v3
	v_add_f32_e32 v3, v60, v68
	ds_write2_b32 v34, v2, v4 offset1:9
	v_add_f32_e32 v2, v32, v60
	v_fmac_f32_e32 v32, -0.5, v3
	v_mul_u32_u24_e32 v3, 0x6c, v43
	v_lshlrev_b32_e32 v4, 2, v49
	v_add3_u32 v36, 0, v3, v4
	v_sub_f32_e32 v3, v67, v76
	v_add_f32_e32 v2, v2, v68
	v_fmamk_f32 v4, v3, 0x3f5db3d7, v32
	ds_write_b32 v34, v33 offset:72
	ds_write2_b32 v36, v2, v4 offset1:9
	v_add_f32_e32 v2, v30, v1
	v_fmac_f32_e32 v32, 0xbf5db3d7, v3
	v_add_f32_e32 v3, v74, v63
	v_add_f32_e32 v37, v2, v10
	;; [unrolled: 1-line block ×3, first 2 shown]
	v_fmac_f32_e32 v17, -0.5, v3
	v_sub_f32_e32 v3, v82, v72
	v_fmamk_f32 v4, v3, 0x3f5db3d7, v17
	v_fmac_f32_e32 v17, 0xbf5db3d7, v3
	v_mul_u32_u24_e32 v3, 0x6c, v50
	v_lshlrev_b32_e32 v5, 2, v51
	v_add3_u32 v49, 0, v3, v5
	v_add_f32_e32 v2, v2, v63
	v_add_f32_e32 v3, v69, v81
	;; [unrolled: 1-line block ×3, first 2 shown]
	ds_write_b32 v36, v32 offset:72
	ds_write2_b32 v49, v2, v4 offset1:9
	v_add_f32_e32 v2, v0, v69
	v_fmac_f32_e32 v0, -0.5, v3
	v_sub_f32_e32 v3, v79, v84
	v_sub_f32_e32 v43, v12, v11
	v_fmamk_f32 v4, v3, 0x3f5db3d7, v0
	v_fmac_f32_e32 v0, 0xbf5db3d7, v3
	v_fma_f32 v50, -0.5, v1, v30
	v_add_f32_e32 v1, v2, v81
	v_mul_u32_u24_e32 v2, 0x6c, v53
	v_lshlrev_b32_e32 v3, 2, v54
	v_add3_u32 v51, 0, v2, v3
	v_fmamk_f32 v53, v43, 0xbf5db3d7, v50
	v_fmac_f32_e32 v50, 0x3f5db3d7, v43
	v_add_f32_e32 v43, v97, v103
	ds_write_b32 v49, v17 offset:72
	ds_write2_b32 v51, v1, v4 offset1:9
	ds_write_b32 v51, v0 offset:72
	s_waitcnt lgkmcnt(0)
	; wave barrier
	s_waitcnt lgkmcnt(0)
	ds_read2_b32 v[4:5], v100 offset1:63
	ds_read_b32 v33, v65
	ds_read_b32 v32, v71
	;; [unrolled: 1-line block ×4, first 2 shown]
	ds_read_b32 v98, v100 offset:6552
	ds_read2_b32 v[0:1], v52 offset0:120 offset1:183
	ds_read2_b32 v[10:11], v40 offset0:110 offset1:173
	;; [unrolled: 1-line block ×10, first 2 shown]
	s_waitcnt lgkmcnt(0)
	; wave barrier
	s_waitcnt lgkmcnt(0)
	ds_write2_b32 v104, v37, v53 offset1:9
	v_add_f32_e32 v37, v31, v97
	v_fmac_f32_e32 v31, -0.5, v43
	v_sub_f32_e32 v43, v96, v102
	ds_write_b32 v104, v50 offset:72
	v_add_f32_e32 v37, v37, v103
	v_fmamk_f32 v50, v43, 0xbf5db3d7, v31
	v_fmac_f32_e32 v31, 0x3f5db3d7, v43
	v_add_f32_e32 v43, v95, v91
	ds_write2_b32 v109, v37, v50 offset1:9
	v_add_f32_e32 v37, v28, v95
	v_sub_f32_e32 v50, v94, v90
	v_fma_f32 v28, -0.5, v43, v28
	v_add_f32_e32 v53, v87, v89
	v_fmamk_f32 v43, v50, 0xbf5db3d7, v28
	v_fmac_f32_e32 v28, 0x3f5db3d7, v50
	v_add_f32_e32 v50, v29, v87
	v_fmac_f32_e32 v29, -0.5, v53
	v_sub_f32_e32 v53, v86, v88
	v_fmamk_f32 v54, v53, 0xbf5db3d7, v29
	v_fmac_f32_e32 v29, 0x3f5db3d7, v53
	v_add_f32_e32 v53, v105, v58
	v_add_f32_e32 v58, v58, v66
	v_fmac_f32_e32 v105, -0.5, v58
	v_sub_f32_e32 v55, v55, v59
	v_add_f32_e32 v59, v70, v62
	v_fmamk_f32 v58, v55, 0xbf5db3d7, v105
	v_fmac_f32_e32 v105, 0x3f5db3d7, v55
	v_add_f32_e32 v55, v106, v70
	v_fmac_f32_e32 v106, -0.5, v59
	v_sub_f32_e32 v56, v61, v56
	v_add_f32_e32 v61, v67, v76
	v_add_f32_e32 v55, v55, v62
	v_fmamk_f32 v59, v56, 0xbf5db3d7, v106
	v_fmac_f32_e32 v106, 0x3f5db3d7, v56
	v_add_f32_e32 v56, v107, v67
	v_fmac_f32_e32 v107, -0.5, v61
	v_sub_f32_e32 v60, v60, v68
	v_add_f32_e32 v62, v82, v72
	;; [unrolled: 7-line block ×3, first 2 shown]
	v_fmamk_f32 v63, v62, 0xbf5db3d7, v108
	v_fmac_f32_e32 v108, 0x3f5db3d7, v62
	v_add_f32_e32 v62, v6, v79
	v_fmac_f32_e32 v6, -0.5, v66
	v_sub_f32_e32 v66, v69, v81
	v_fmamk_f32 v67, v66, 0xbf5db3d7, v6
	v_fmac_f32_e32 v6, 0x3f5db3d7, v66
	v_add_f32_e32 v37, v37, v91
	v_add_f32_e32 v50, v50, v89
	;; [unrolled: 1-line block ×5, first 2 shown]
	ds_write_b32 v109, v31 offset:72
	ds_write2_b32 v99, v37, v43 offset1:9
	ds_write_b32 v99, v28 offset:72
	ds_write2_b32 v92, v50, v54 offset1:9
	;; [unrolled: 2-line block ×7, first 2 shown]
	ds_write_b32 v51, v6 offset:72
	v_mul_u32_u24_sdwa v6, v93, s0 dst_sel:DWORD dst_unused:UNUSED_PAD src0_sel:WORD_0 src1_sel:DWORD
	v_sub_u16_sdwa v28, v93, v6 dst_sel:DWORD dst_unused:UNUSED_PAD src0_sel:DWORD src1_sel:WORD_1
	v_lshrrev_b16_e32 v28, 1, v28
	v_add_u16_sdwa v6, v28, v6 dst_sel:DWORD dst_unused:UNUSED_PAD src0_sel:DWORD src1_sel:WORD_1
	v_lshrrev_b16_e32 v31, 4, v6
	v_mul_lo_u16_e32 v6, 27, v31
	v_sub_u16_e32 v6, v93, v6
	v_lshlrev_b32_e32 v28, 4, v6
	s_waitcnt lgkmcnt(0)
	; wave barrier
	s_waitcnt lgkmcnt(0)
	global_load_dwordx4 v[60:63], v28, s[4:5] offset:192
	v_mul_u32_u24_sdwa v28, v80, s0 dst_sel:DWORD dst_unused:UNUSED_PAD src0_sel:WORD_0 src1_sel:DWORD
	v_sub_u16_sdwa v29, v80, v28 dst_sel:DWORD dst_unused:UNUSED_PAD src0_sel:DWORD src1_sel:WORD_1
	v_lshrrev_b16_e32 v29, 1, v29
	v_add_u16_sdwa v28, v29, v28 dst_sel:DWORD dst_unused:UNUSED_PAD src0_sel:DWORD src1_sel:WORD_1
	v_lshrrev_b16_e32 v49, 4, v28
	v_mul_lo_u16_e32 v28, 27, v49
	v_sub_u16_e32 v34, v80, v28
	v_lshlrev_b32_e32 v28, 4, v34
	global_load_dwordx4 v[86:89], v28, s[4:5] offset:192
	v_mul_u32_u24_sdwa v28, v78, s0 dst_sel:DWORD dst_unused:UNUSED_PAD src0_sel:WORD_0 src1_sel:DWORD
	v_sub_u16_sdwa v29, v78, v28 dst_sel:DWORD dst_unused:UNUSED_PAD src0_sel:DWORD src1_sel:WORD_1
	v_lshrrev_b16_e32 v29, 1, v29
	v_add_u16_sdwa v28, v29, v28 dst_sel:DWORD dst_unused:UNUSED_PAD src0_sel:DWORD src1_sel:WORD_1
	v_lshrrev_b16_e32 v43, 4, v28
	v_mul_lo_u16_e32 v28, 27, v43
	v_sub_u16_e32 v35, v78, v28
	v_lshlrev_b32_e32 v28, 4, v35
	;; [unrolled: 9-line block ×4, first 2 shown]
	global_load_dwordx4 v[106:109], v28, s[4:5] offset:192
	v_mov_b32_e32 v28, 19
	v_mul_lo_u16_sdwa v29, v41, v28 dst_sel:DWORD dst_unused:UNUSED_PAD src0_sel:BYTE_0 src1_sel:DWORD
	v_lshrrev_b16_e32 v90, 9, v29
	v_mul_lo_u16_e32 v29, 27, v90
	v_sub_u16_e32 v91, v41, v29
	v_lshlrev_b32_sdwa v29, v38, v91 dst_sel:DWORD dst_unused:UNUSED_PAD src0_sel:DWORD src1_sel:BYTE_0
	global_load_dwordx4 v[110:113], v29, s[4:5] offset:192
	v_mul_lo_u16_sdwa v29, v64, v28 dst_sel:DWORD dst_unused:UNUSED_PAD src0_sel:BYTE_0 src1_sel:DWORD
	v_lshrrev_b16_e32 v92, 9, v29
	v_mul_lo_u16_e32 v29, 27, v92
	v_sub_u16_e32 v99, v64, v29
	v_lshlrev_b32_sdwa v29, v38, v99 dst_sel:DWORD dst_unused:UNUSED_PAD src0_sel:DWORD src1_sel:BYTE_0
	global_load_dwordx4 v[116:119], v29, s[4:5] offset:192
	;; [unrolled: 6-line block ×4, first 2 shown]
	ds_read2_b32 v[28:29], v85 offset0:116 offset1:179
	ds_read2_b32 v[36:37], v47 offset0:106 offset1:169
	;; [unrolled: 1-line block ×3, first 2 shown]
	s_movk_i32 s0, 0x144
	v_lshlrev_b32_e32 v6, 2, v6
	s_waitcnt vmcnt(8) lgkmcnt(2)
	v_mul_f32_e32 v55, v29, v61
	v_fma_f32 v55, v17, v60, -v55
	v_mul_f32_e32 v58, v17, v61
	s_waitcnt lgkmcnt(1)
	v_mul_f32_e32 v17, v36, v63
	v_fma_f32 v59, v26, v62, -v17
	v_mul_f32_e32 v66, v26, v63
	v_fmac_f32_e32 v66, v36, v62
	v_fmac_f32_e32 v58, v29, v60
	s_waitcnt vmcnt(7)
	v_mul_f32_e32 v17, v37, v89
	v_fma_f32 v56, v27, v88, -v17
	v_mul_f32_e32 v62, v27, v89
	s_waitcnt lgkmcnt(0)
	v_mul_f32_e32 v17, v68, v87
	ds_read2_b32 v[26:27], v83 offset0:104 offset1:167
	v_fma_f32 v61, v22, v86, -v17
	v_mul_f32_e32 v70, v22, v87
	v_fmac_f32_e32 v70, v68, v86
	v_fmac_f32_e32 v62, v37, v88
	s_waitcnt vmcnt(6)
	v_mul_f32_e32 v17, v69, v95
	v_fma_f32 v60, v23, v94, -v17
	v_mul_f32_e32 v67, v23, v95
	ds_read2_b32 v[22:23], v57 offset0:112 offset1:175
	s_waitcnt lgkmcnt(1)
	v_mul_f32_e32 v17, v26, v97
	v_fma_f32 v68, v20, v96, -v17
	v_fmac_f32_e32 v67, v69, v94
	v_mul_f32_e32 v76, v20, v97
	v_fmac_f32_e32 v76, v26, v96
	s_waitcnt vmcnt(5)
	v_mul_f32_e32 v17, v27, v105
	v_fma_f32 v63, v21, v104, -v17
	s_waitcnt lgkmcnt(0)
	v_mul_f32_e32 v17, v22, v103
	v_fma_f32 v74, v18, v102, -v17
	ds_read_b32 v17, v100 offset:6552
	v_mul_f32_e32 v82, v18, v103
	v_fmac_f32_e32 v82, v22, v102
	v_mul_f32_e32 v72, v21, v105
	v_fmac_f32_e32 v72, v27, v104
	s_waitcnt vmcnt(4)
	v_mul_f32_e32 v18, v23, v107
	v_fma_f32 v69, v19, v106, -v18
	s_waitcnt lgkmcnt(0)
	v_mul_f32_e32 v18, v17, v109
	v_mul_f32_e32 v79, v19, v107
	v_fma_f32 v81, v98, v108, -v18
	ds_read2_b32 v[18:19], v39 offset0:108 offset1:171
	v_mul_f32_e32 v84, v98, v109
	v_fmac_f32_e32 v84, v17, v108
	s_waitcnt vmcnt(3)
	v_mul_f32_e32 v17, v28, v111
	v_fma_f32 v86, v16, v110, -v17
	v_mul_f32_e32 v87, v16, v111
	s_waitcnt lgkmcnt(0)
	v_mul_f32_e32 v16, v19, v113
	v_fma_f32 v88, v15, v112, -v16
	ds_read2_b32 v[16:17], v48 offset0:118 offset1:181
	v_mul_f32_e32 v89, v15, v113
	s_waitcnt vmcnt(2)
	v_mul_f32_e32 v15, v18, v119
	v_fma_f32 v94, v14, v118, -v15
	v_mul_f32_e32 v95, v14, v119
	s_waitcnt lgkmcnt(0)
	v_mul_f32_e32 v14, v17, v117
	v_fma_f32 v96, v13, v116, -v14
	ds_read2_b32 v[14:15], v40 offset0:110 offset1:173
	v_mul_f32_e32 v97, v13, v117
	s_waitcnt vmcnt(1)
	v_mul_f32_e32 v13, v16, v121
	v_fma_f32 v98, v12, v120, -v13
	v_mul_f32_e32 v102, v12, v121
	s_waitcnt lgkmcnt(0)
	v_mul_f32_e32 v12, v15, v123
	v_fma_f32 v103, v11, v122, -v12
	ds_read2_b32 v[12:13], v52 offset0:120 offset1:183
	v_mul_f32_e32 v104, v11, v123
	s_waitcnt vmcnt(0)
	v_mul_f32_e32 v11, v14, v127
	v_fma_f32 v11, v10, v126, -v11
	v_mul_f32_e32 v10, v10, v127
	v_fmac_f32_e32 v10, v14, v126
	s_waitcnt lgkmcnt(0)
	v_mul_f32_e32 v14, v13, v125
	v_fma_f32 v14, v1, v124, -v14
	v_mul_f32_e32 v1, v1, v125
	v_fmac_f32_e32 v102, v16, v120
	v_fmac_f32_e32 v104, v15, v122
	;; [unrolled: 1-line block ×3, first 2 shown]
	v_mul_u32_u24_e32 v13, 0x144, v128
	v_lshlrev_b32_sdwa v15, v42, v129 dst_sel:DWORD dst_unused:UNUSED_PAD src0_sel:DWORD src1_sel:BYTE_0
	v_add_f32_e32 v16, v14, v11
	v_add3_u32 v13, 0, v13, v15
	v_add_f32_e32 v15, v4, v14
	v_fma_f32 v4, -0.5, v16, v4
	v_sub_f32_e32 v16, v1, v10
	v_fmac_f32_e32 v97, v17, v116
	v_add_f32_e32 v15, v15, v11
	v_fmamk_f32 v17, v16, 0x3f5db3d7, v4
	v_fmac_f32_e32 v4, 0xbf5db3d7, v16
	v_add_f32_e32 v16, v98, v103
	v_fmac_f32_e32 v79, v23, v106
	v_fmac_f32_e32 v87, v28, v110
	ds_read_b32 v105, v65
	ds_read_b32 v106, v71
	ds_read_b32 v107, v73
	ds_read_b32 v108, v75
	ds_read2_b32 v[36:37], v100 offset1:63
	ds_read2_b32 v[28:29], v100 offset0:126 offset1:189
	s_waitcnt lgkmcnt(0)
	; wave barrier
	s_waitcnt lgkmcnt(0)
	ds_write2_b32 v13, v15, v17 offset1:27
	v_add_f32_e32 v15, v5, v98
	v_fmac_f32_e32 v5, -0.5, v16
	ds_write_b32 v13, v4 offset:216
	v_mul_u32_u24_e32 v4, 0x144, v101
	v_lshlrev_b32_sdwa v16, v42, v115 dst_sel:DWORD dst_unused:UNUSED_PAD src0_sel:DWORD src1_sel:BYTE_0
	v_add3_u32 v101, 0, v4, v16
	v_add_f32_e32 v4, v15, v103
	v_sub_f32_e32 v15, v102, v104
	v_fmamk_f32 v16, v15, 0x3f5db3d7, v5
	v_fmac_f32_e32 v5, 0xbf5db3d7, v15
	v_fmac_f32_e32 v95, v18, v118
	ds_write2_b32 v101, v4, v16 offset1:27
	ds_write_b32 v101, v5 offset:216
	v_mul_u32_u24_e32 v4, 0x144, v92
	v_lshlrev_b32_sdwa v5, v42, v99 dst_sel:DWORD dst_unused:UNUSED_PAD src0_sel:DWORD src1_sel:BYTE_0
	v_add_f32_e32 v15, v96, v94
	v_add3_u32 v5, 0, v4, v5
	v_add_f32_e32 v4, v2, v96
	v_fma_f32 v2, -0.5, v15, v2
	v_sub_f32_e32 v15, v97, v95
	v_add_f32_e32 v4, v4, v94
	v_fmamk_f32 v16, v15, 0x3f5db3d7, v2
	v_fmac_f32_e32 v2, 0xbf5db3d7, v15
	v_add_f32_e32 v15, v86, v88
	v_fmac_f32_e32 v89, v19, v112
	ds_write2_b32 v5, v4, v16 offset1:27
	v_add_f32_e32 v4, v3, v86
	v_fmac_f32_e32 v3, -0.5, v15
	ds_write_b32 v5, v2 offset:216
	v_mul_u32_u24_e32 v2, 0x144, v90
	v_lshlrev_b32_sdwa v15, v42, v91 dst_sel:DWORD dst_unused:UNUSED_PAD src0_sel:DWORD src1_sel:BYTE_0
	v_add3_u32 v2, 0, v2, v15
	v_sub_f32_e32 v15, v87, v89
	v_add_f32_e32 v4, v4, v88
	v_fmamk_f32 v16, v15, 0x3f5db3d7, v3
	ds_write2_b32 v2, v4, v16 offset1:27
	v_fmac_f32_e32 v3, 0xbf5db3d7, v15
	v_add_f32_e32 v4, v55, v59
	ds_write_b32 v2, v3 offset:216
	v_add_f32_e32 v3, v33, v55
	v_fmac_f32_e32 v33, -0.5, v4
	v_perm_b32 v4, v49, v31, s2
	v_pk_mul_lo_u16 v4, v4, s0 op_sel_hi:[1,0]
	v_add_f32_e32 v3, v3, v59
	v_and_b32_e32 v15, 0xfffc, v4
	v_add3_u32 v90, 0, v15, v6
	v_sub_f32_e32 v6, v58, v66
	v_fmamk_f32 v15, v6, 0x3f5db3d7, v33
	v_fmac_f32_e32 v33, 0xbf5db3d7, v6
	v_add_f32_e32 v6, v61, v56
	ds_write2_b32 v90, v3, v15 offset1:27
	v_add_f32_e32 v3, v32, v61
	v_fmac_f32_e32 v32, -0.5, v6
	v_lshrrev_b32_e32 v4, 16, v4
	v_lshlrev_b32_e32 v6, 2, v34
	v_add3_u32 v91, 0, v4, v6
	v_sub_f32_e32 v4, v70, v62
	v_add_f32_e32 v3, v3, v56
	v_fmamk_f32 v6, v4, 0x3f5db3d7, v32
	v_fmac_f32_e32 v32, 0xbf5db3d7, v4
	v_add_f32_e32 v4, v60, v68
	ds_write_b32 v90, v33 offset:216
	ds_write2_b32 v91, v3, v6 offset1:27
	v_add_f32_e32 v3, v30, v60
	v_fmac_f32_e32 v30, -0.5, v4
	v_perm_b32 v4, v51, v43, s2
	v_pk_mul_lo_u16 v4, v4, s0 op_sel_hi:[1,0]
	v_lshlrev_b32_e32 v6, 2, v35
	v_and_b32_e32 v15, 0xfffc, v4
	v_add3_u32 v51, 0, v15, v6
	v_sub_f32_e32 v6, v67, v76
	v_add_f32_e32 v3, v3, v68
	v_fmamk_f32 v15, v6, 0x3f5db3d7, v30
	ds_write_b32 v91, v32 offset:216
	ds_write2_b32 v51, v3, v15 offset1:27
	v_add_f32_e32 v3, v36, v1
	v_add_f32_e32 v3, v3, v10
	;; [unrolled: 1-line block ×4, first 2 shown]
	v_fmac_f32_e32 v30, 0xbf5db3d7, v6
	v_add_f32_e32 v6, v7, v74
	v_fmac_f32_e32 v7, -0.5, v10
	v_sub_f32_e32 v10, v82, v72
	v_sub_f32_e32 v92, v14, v11
	v_fmamk_f32 v11, v10, 0x3f5db3d7, v7
	v_fmac_f32_e32 v7, 0xbf5db3d7, v10
	v_lshrrev_b32_e32 v4, 16, v4
	v_lshlrev_b32_e32 v10, 2, v50
	v_add3_u32 v50, 0, v4, v10
	v_add_f32_e32 v4, v6, v63
	v_add_f32_e32 v6, v69, v81
	ds_write_b32 v51, v30 offset:216
	ds_write2_b32 v50, v4, v11 offset1:27
	v_add_f32_e32 v4, v0, v69
	v_fmac_f32_e32 v0, -0.5, v6
	v_sub_f32_e32 v6, v79, v84
	v_fmamk_f32 v10, v6, 0x3f5db3d7, v0
	v_fmac_f32_e32 v0, 0xbf5db3d7, v6
	ds_write_b32 v50, v7 offset:216
	v_mul_u32_u24_e32 v6, 0x144, v53
	v_lshlrev_b32_e32 v7, 2, v54
	v_fma_f32 v1, -0.5, v1, v36
	v_add_f32_e32 v4, v4, v81
	v_add3_u32 v53, 0, v6, v7
	ds_write2_b32 v53, v4, v10 offset1:27
	ds_write_b32 v53, v0 offset:216
	v_fmamk_f32 v0, v92, 0xbf5db3d7, v1
	v_fmac_f32_e32 v1, 0x3f5db3d7, v92
	s_waitcnt lgkmcnt(0)
	; wave barrier
	s_waitcnt lgkmcnt(0)
	ds_read2_b32 v[10:11], v100 offset1:63
	ds_read_b32 v49, v65
	ds_read_b32 v36, v71
	;; [unrolled: 1-line block ×3, first 2 shown]
	ds_read2_b32 v[26:27], v52 offset0:120 offset1:183
	ds_read2_b32 v[34:35], v40 offset0:110 offset1:173
	;; [unrolled: 1-line block ×10, first 2 shown]
	ds_read_b32 v99, v100 offset:6552
	ds_read_b32 v4, v75
	s_waitcnt lgkmcnt(0)
	; wave barrier
	s_waitcnt lgkmcnt(0)
	ds_write_b32 v13, v1 offset:216
	v_add_f32_e32 v1, v102, v104
	ds_write2_b32 v13, v3, v0 offset1:27
	v_add_f32_e32 v0, v37, v102
	v_fmac_f32_e32 v37, -0.5, v1
	v_sub_f32_e32 v1, v98, v103
	v_add_f32_e32 v0, v0, v104
	v_fmamk_f32 v3, v1, 0xbf5db3d7, v37
	v_fmac_f32_e32 v37, 0x3f5db3d7, v1
	v_add_f32_e32 v1, v97, v95
	ds_write2_b32 v101, v0, v3 offset1:27
	v_add_f32_e32 v0, v28, v97
	v_sub_f32_e32 v3, v96, v94
	v_fma_f32 v1, -0.5, v1, v28
	v_add_f32_e32 v28, v87, v89
	v_fmamk_f32 v13, v3, 0xbf5db3d7, v1
	v_fmac_f32_e32 v1, 0x3f5db3d7, v3
	v_add_f32_e32 v3, v29, v87
	v_fmac_f32_e32 v29, -0.5, v28
	v_sub_f32_e32 v28, v86, v88
	v_add_f32_e32 v54, v58, v66
	ds_write_b32 v101, v37 offset:216
	v_fmamk_f32 v37, v28, 0xbf5db3d7, v29
	v_fmac_f32_e32 v29, 0x3f5db3d7, v28
	v_add_f32_e32 v28, v105, v58
	v_fmac_f32_e32 v105, -0.5, v54
	v_sub_f32_e32 v54, v55, v59
	v_add_f32_e32 v58, v70, v62
	v_fmamk_f32 v55, v54, 0xbf5db3d7, v105
	v_fmac_f32_e32 v105, 0x3f5db3d7, v54
	v_add_f32_e32 v54, v106, v70
	v_fmac_f32_e32 v106, -0.5, v58
	v_sub_f32_e32 v56, v61, v56
	v_add_f32_e32 v59, v67, v76
	;; [unrolled: 6-line block ×4, first 2 shown]
	v_add_f32_e32 v0, v0, v95
	v_add_f32_e32 v54, v54, v62
	v_fmamk_f32 v62, v61, 0xbf5db3d7, v108
	v_fmac_f32_e32 v108, 0x3f5db3d7, v61
	v_add_f32_e32 v61, v12, v79
	v_fmac_f32_e32 v12, -0.5, v63
	v_sub_f32_e32 v63, v69, v81
	v_add_f32_e32 v3, v3, v89
	v_add_f32_e32 v28, v28, v66
	;; [unrolled: 1-line block ×5, first 2 shown]
	v_fmamk_f32 v66, v63, 0xbf5db3d7, v12
	v_fmac_f32_e32 v12, 0x3f5db3d7, v63
	ds_write2_b32 v5, v0, v13 offset1:27
	ds_write_b32 v5, v1 offset:216
	ds_write2_b32 v2, v3, v37 offset1:27
	ds_write_b32 v2, v29 offset:216
	;; [unrolled: 2-line block ×7, first 2 shown]
	v_subrev_u32_e32 v5, 18, v114
	v_cmp_gt_u32_e64 s[0:1], 18, v114
	v_lshlrev_b32_e32 v12, 1, v114
	v_mov_b32_e32 v13, 0
	v_cndmask_b32_e64 v37, v5, v46, s[0:1]
	s_movk_i32 s0, 0xcb
	v_mul_lo_u16_sdwa v5, v64, s0 dst_sel:DWORD dst_unused:UNUSED_PAD src0_sel:BYTE_0 src1_sel:DWORD
	v_lshl_add_u64 v[0:1], v[12:13], 3, s[4:5]
	v_lshrrev_b16_e32 v56, 14, v5
	s_waitcnt lgkmcnt(0)
	; wave barrier
	s_waitcnt lgkmcnt(0)
	global_load_dwordx4 v[0:3], v[0:1], off offset:624
	v_mul_lo_u16_e32 v5, 0x51, v56
	v_sub_u16_e32 v70, v64, v5
	v_lshlrev_b32_sdwa v5, v38, v70 dst_sel:DWORD dst_unused:UNUSED_PAD src0_sel:DWORD src1_sel:BYTE_0
	global_load_dwordx4 v[66:69], v5, s[4:5] offset:624
	v_mul_lo_u16_sdwa v5, v41, s0 dst_sel:DWORD dst_unused:UNUSED_PAD src0_sel:BYTE_0 src1_sel:DWORD
	v_lshlrev_b32_e32 v12, 1, v37
	v_lshrrev_b16_e32 v74, 14, v5
	v_lshl_add_u64 v[12:13], v[12:13], 3, s[4:5]
	v_mul_lo_u16_e32 v5, 0x51, v74
	global_load_dwordx4 v[58:61], v[12:13], off offset:624
	v_sub_u16_e32 v101, v41, v5
	v_lshlrev_b32_sdwa v5, v38, v101 dst_sel:DWORD dst_unused:UNUSED_PAD src0_sel:DWORD src1_sel:BYTE_0
	global_load_dwordx4 v[86:89], v5, s[4:5] offset:624
	s_movk_i32 s0, 0x6523
	v_mul_u32_u24_sdwa v5, v93, s0 dst_sel:DWORD dst_unused:UNUSED_PAD src0_sel:WORD_0 src1_sel:DWORD
	v_lshrrev_b32_e32 v5, 21, v5
	v_mul_lo_u16_e32 v5, 0x51, v5
	v_sub_u16_e32 v38, v93, v5
	v_lshlrev_b32_e32 v5, 4, v38
	global_load_dwordx4 v[102:105], v5, s[4:5] offset:624
	v_mul_u32_u24_sdwa v5, v80, s0 dst_sel:DWORD dst_unused:UNUSED_PAD src0_sel:WORD_0 src1_sel:DWORD
	v_lshrrev_b32_e32 v115, 21, v5
	v_mul_lo_u16_e32 v5, 0x51, v115
	v_sub_u16_e32 v120, v80, v5
	v_lshlrev_b32_e32 v5, 4, v120
	global_load_dwordx4 v[106:109], v5, s[4:5] offset:624
	v_mul_u32_u24_sdwa v5, v78, s0 dst_sel:DWORD dst_unused:UNUSED_PAD src0_sel:WORD_0 src1_sel:DWORD
	v_lshrrev_b32_e32 v121, 21, v5
	v_mul_lo_u16_e32 v5, 0x51, v121
	v_sub_u16_e32 v122, v78, v5
	v_lshlrev_b32_e32 v5, 4, v122
	global_load_dwordx4 v[110:113], v5, s[4:5] offset:624
	v_mul_u32_u24_sdwa v5, v77, s0 dst_sel:DWORD dst_unused:UNUSED_PAD src0_sel:WORD_0 src1_sel:DWORD
	v_lshrrev_b32_e32 v123, 21, v5
	v_mul_lo_u16_e32 v5, 0x51, v123
	v_sub_u16_e32 v124, v77, v5
	v_lshlrev_b32_e32 v5, 4, v124
	global_load_dwordx4 v[76:79], v5, s[4:5] offset:624
	v_mul_u32_u24_sdwa v5, v44, s0 dst_sel:DWORD dst_unused:UNUSED_PAD src0_sel:WORD_0 src1_sel:DWORD
	v_lshrrev_b32_e32 v5, 21, v5
	v_mul_lo_u16_e32 v5, 0x51, v5
	v_sub_u16_e32 v125, v44, v5
	v_lshlrev_b32_e32 v5, 4, v125
	global_load_dwordx4 v[116:119], v5, s[4:5] offset:624
	ds_read2_b32 v[28:29], v52 offset0:120 offset1:183
	ds_read2_b32 v[50:51], v40 offset0:110 offset1:173
	v_cmp_lt_u32_e64 s[0:1], 17, v114
	s_waitcnt vmcnt(8) lgkmcnt(1)
	v_mul_f32_e32 v5, v29, v1
	v_mul_f32_e32 v62, v27, v1
	v_fma_f32 v12, v27, v0, -v5
	v_fmac_f32_e32 v62, v29, v0
	ds_read2_b32 v[0:1], v48 offset0:118 offset1:181
	s_waitcnt lgkmcnt(1)
	v_mul_f32_e32 v5, v50, v3
	v_mul_f32_e32 v92, v34, v3
	v_fma_f32 v82, v34, v2, -v5
	v_fmac_f32_e32 v92, v50, v2
	s_waitcnt vmcnt(7)
	v_mul_f32_e32 v80, v33, v67
	s_waitcnt vmcnt(6) lgkmcnt(0)
	v_mul_f32_e32 v2, v0, v59
	v_fma_f32 v29, v32, v58, -v2
	ds_read2_b32 v[2:3], v39 offset0:108 offset1:171
	v_mul_f32_e32 v63, v32, v59
	v_fmac_f32_e32 v63, v0, v58
	v_mul_f32_e32 v0, v51, v61
	v_fma_f32 v72, v35, v60, -v0
	v_mul_f32_e32 v0, v1, v67
	v_fma_f32 v44, v33, v66, -v0
	s_waitcnt lgkmcnt(0)
	v_mul_f32_e32 v0, v2, v69
	v_fmac_f32_e32 v80, v1, v66
	v_fma_f32 v84, v30, v68, -v0
	ds_read2_b32 v[0:1], v85 offset0:116 offset1:179
	ds_read2_b32 v[32:33], v47 offset0:106 offset1:169
	v_mul_f32_e32 v94, v30, v69
	v_fmac_f32_e32 v94, v2, v68
	s_waitcnt vmcnt(5)
	v_mul_f32_e32 v2, v3, v89
	v_mul_f32_e32 v98, v22, v87
	v_fma_f32 v55, v31, v88, -v2
	s_waitcnt lgkmcnt(1)
	v_mul_f32_e32 v2, v0, v87
	v_fmac_f32_e32 v98, v0, v86
	s_waitcnt vmcnt(4)
	v_mul_f32_e32 v0, v1, v103
	v_fma_f32 v85, v22, v86, -v2
	v_fma_f32 v46, v23, v102, -v0
	v_mul_f32_e32 v86, v23, v103
	s_waitcnt lgkmcnt(0)
	v_mul_f32_e32 v0, v32, v105
	v_fmac_f32_e32 v86, v1, v102
	v_fma_f32 v87, v20, v104, -v0
	ds_read2_b32 v[0:1], v45 offset0:114 offset1:177
	s_waitcnt vmcnt(3)
	v_mul_f32_e32 v2, v33, v109
	v_mul_f32_e32 v91, v31, v89
	v_fma_f32 v53, v21, v108, -v2
	v_fmac_f32_e32 v91, v3, v88
	s_waitcnt lgkmcnt(0)
	v_mul_f32_e32 v2, v0, v107
	v_fma_f32 v88, v18, v106, -v2
	ds_read2_b32 v[2:3], v83 offset0:104 offset1:167
	v_mul_f32_e32 v96, v18, v107
	v_fmac_f32_e32 v96, v0, v106
	s_waitcnt vmcnt(2)
	v_mul_f32_e32 v0, v1, v111
	v_fma_f32 v54, v19, v110, -v0
	v_mul_f32_e32 v83, v19, v111
	ds_read2_b32 v[18:19], v57 offset0:112 offset1:175
	s_waitcnt lgkmcnt(1)
	v_mul_f32_e32 v0, v2, v113
	v_mul_f32_e32 v89, v21, v109
	v_fma_f32 v90, v14, v112, -v0
	v_mul_f32_e32 v97, v14, v113
	s_waitcnt vmcnt(1)
	v_mul_f32_e32 v0, v3, v79
	ds_read_b32 v21, v100 offset:6552
	v_fmac_f32_e32 v83, v1, v110
	v_fmac_f32_e32 v97, v2, v112
	v_mul_f32_e32 v1, v15, v79
	v_fma_f32 v2, v15, v78, -v0
	v_mul_f32_e32 v15, v16, v77
	v_fmac_f32_e32 v1, v3, v78
	v_mul_f32_e32 v14, v16, v76
	s_waitcnt lgkmcnt(1)
	v_mul_f32_e32 v0, v18, v77
	v_fmac_f32_e32 v15, v18, v76
	s_waitcnt vmcnt(0)
	v_mul_f32_e32 v81, v17, v117
	v_mul_f32_e32 v3, v19, v117
	v_fmac_f32_e32 v81, v19, v116
	v_pk_add_f32 v[18:19], v[14:15], v[0:1] neg_lo:[0,1] neg_hi:[0,1]
	v_add_f32_e32 v0, v12, v82
	v_mul_f32_e32 v13, v99, v119
	v_fma_f32 v0, -0.5, v0, v10
	v_sub_f32_e32 v30, v62, v92
	v_mul_f32_e32 v95, v20, v105
	v_fma_f32 v27, v17, v116, -v3
	v_mul_f32_e32 v5, v99, v118
	s_waitcnt lgkmcnt(0)
	v_fmac_f32_e32 v13, v21, v118
	v_add_f32_e32 v20, v18, v2
	v_mov_b32_e32 v118, 0.5
	v_add_f32_e32 v3, v10, v12
	v_fmamk_f32 v31, v30, 0x3f5db3d7, v0
	v_fmac_f32_e32 v0, 0xbf5db3d7, v30
	v_mul_f32_e32 v93, v35, v61
	v_pk_fma_f32 v[16:17], v[20:21], v[118:119], v[4:5] neg_lo:[1,0,0] neg_hi:[1,0,0]
	v_add_f32_e32 v3, v3, v82
	ds_read_b32 v99, v65
	ds_read_b32 v14, v71
	;; [unrolled: 1-line block ×4, first 2 shown]
	ds_read2_b32 v[22:23], v100 offset1:63
	ds_read2_b32 v[20:21], v100 offset0:126 offset1:189
	s_waitcnt lgkmcnt(0)
	; wave barrier
	s_waitcnt lgkmcnt(0)
	v_add_f32_e32 v30, v29, v72
	ds_write_b32 v100, v0 offset:648
	v_mov_b32_e32 v0, 0x3cc
	v_fmac_f32_e32 v93, v51, v60
	ds_write2_b32 v100, v3, v31 offset1:81
	v_add_f32_e32 v3, v11, v29
	v_fmac_f32_e32 v11, -0.5, v30
	v_cndmask_b32_e64 v0, 0, v0, s[0:1]
	v_lshlrev_b32_e32 v30, 2, v37
	v_add3_u32 v73, 0, v0, v30
	v_add_f32_e32 v0, v3, v72
	v_sub_f32_e32 v3, v63, v93
	v_fmamk_f32 v30, v3, 0x3f5db3d7, v11
	ds_write2_b32 v73, v0, v30 offset1:81
	v_fmac_f32_e32 v11, 0xbf5db3d7, v3
	v_mul_u32_u24_e32 v0, 0x3cc, v56
	v_lshlrev_b32_sdwa v3, v42, v70 dst_sel:DWORD dst_unused:UNUSED_PAD src0_sel:DWORD src1_sel:BYTE_0
	ds_write_b32 v73, v11 offset:648
	v_add3_u32 v11, 0, v0, v3
	v_add_f32_e32 v0, v44, v84
	v_fma_f32 v0, -0.5, v0, v6
	v_add_f32_e32 v3, v6, v44
	v_sub_f32_e32 v6, v80, v94
	v_add_f32_e32 v3, v3, v84
	v_fmamk_f32 v30, v6, 0x3f5db3d7, v0
	v_fmac_f32_e32 v0, 0xbf5db3d7, v6
	v_add_f32_e32 v6, v85, v55
	ds_write2_b32 v11, v3, v30 offset1:81
	v_add_f32_e32 v3, v7, v85
	v_fmac_f32_e32 v7, -0.5, v6
	ds_write_b32 v11, v0 offset:648
	v_lshlrev_b32_sdwa v0, v42, v101 dst_sel:DWORD dst_unused:UNUSED_PAD src0_sel:DWORD src1_sel:BYTE_0
	v_mul_u32_u24_e32 v6, 0x3cc, v74
	v_add3_u32 v6, 0, v6, v0
	v_add_f32_e32 v0, v3, v55
	v_sub_f32_e32 v3, v98, v91
	v_fmac_f32_e32 v95, v32, v104
	v_fmamk_f32 v30, v3, 0x3f5db3d7, v7
	v_fmac_f32_e32 v7, 0xbf5db3d7, v3
	v_add_f32_e32 v3, v46, v87
	ds_write2_b32 v6, v0, v30 offset1:81
	v_add_f32_e32 v0, v49, v46
	v_fmac_f32_e32 v49, -0.5, v3
	ds_write_b32 v6, v7 offset:648
	v_sub_f32_e32 v3, v86, v95
	v_lshl_add_u32 v7, v38, 2, 0
	v_fmamk_f32 v30, v3, 0x3f5db3d7, v49
	v_fmac_f32_e32 v49, 0xbf5db3d7, v3
	v_add_f32_e32 v0, v0, v87
	v_add_u32_e32 v3, 0xa00, v7
	v_fmac_f32_e32 v89, v33, v108
	ds_write2_b32 v3, v0, v30 offset0:89 offset1:170
	v_add_f32_e32 v3, v88, v53
	v_add_f32_e32 v0, v36, v88
	v_fmac_f32_e32 v36, -0.5, v3
	v_sub_f32_e32 v3, v96, v89
	v_add_f32_e32 v30, v54, v90
	v_fmamk_f32 v32, v3, 0x3f5db3d7, v36
	v_fmac_f32_e32 v36, 0xbf5db3d7, v3
	v_add_f32_e32 v3, v43, v54
	v_fmac_f32_e32 v43, -0.5, v30
	v_sub_f32_e32 v30, v83, v97
	v_fmamk_f32 v33, v30, 0x3f5db3d7, v43
	v_fmac_f32_e32 v43, 0xbf5db3d7, v30
	v_mov_b32_e32 v30, v4
	v_mul_u32_u24_e32 v4, 0x3cc, v115
	v_lshlrev_b32_e32 v34, 2, v120
	v_mov_b32_e32 v31, 0x3f5db3d7
	v_add_f32_e32 v0, v0, v53
	v_add3_u32 v101, 0, v4, v34
	s_movk_i32 s0, 0x3cc
	v_perm_b32 v4, v123, v121, s2
	ds_write_b32 v7, v49 offset:3564
	ds_write2_b32 v101, v0, v32 offset1:81
	v_pk_add_f32 v[34:35], v[30:31], v[18:19]
	v_pk_mul_f32 v[30:31], v[30:31], v[18:19]
	v_add_f32_e32 v0, v27, v17
	v_pk_mul_lo_u16 v4, v4, s0 op_sel_hi:[1,0]
	v_add_f32_e32 v51, v26, v27
	v_fmac_f32_e32 v26, -0.5, v0
	v_sub_f32_e32 v0, v81, v13
	v_and_b32_e32 v19, 0xfffc, v4
	v_lshlrev_b32_e32 v30, 2, v122
	v_mov_b32_e32 v35, v31
	v_mov_b32_e32 v50, v31
	v_fmamk_f32 v32, v0, 0x3f5db3d7, v26
	v_fmac_f32_e32 v26, 0xbf5db3d7, v0
	v_add_f32_e32 v0, v3, v90
	v_mov_b32_e32 v3, v16
	v_add3_u32 v19, 0, v19, v30
	ds_write_b32 v101, v36 offset:648
	ds_write2_b32 v19, v0, v33 offset1:81
	v_pk_add_f32 v[30:31], v[2:3], v[34:35]
	v_pk_add_f32 v[34:35], v[2:3], v[34:35] neg_lo:[0,1] neg_hi:[0,1]
	v_pk_add_f32 v[36:37], v[50:51], v[16:17]
	v_lshrrev_b32_e32 v0, 16, v4
	v_lshlrev_b32_e32 v3, 2, v124
	v_lshl_add_u32 v16, v125, 2, 0
	v_add3_u32 v3, 0, v0, v3
	v_add_u32_e32 v0, 0x1600, v16
	ds_write_b32 v19, v43 offset:648
	ds_write2_b32 v3, v30, v36 offset1:81
	ds_write_b32 v3, v35 offset:648
	ds_write2_b32 v0, v37, v32 offset0:50 offset1:131
	ds_write_b32 v16, v26 offset:6480
	s_waitcnt lgkmcnt(0)
	; wave barrier
	s_waitcnt lgkmcnt(0)
	ds_read2_b32 v[70:71], v100 offset1:63
	ds_read2_b32 v[78:79], v52 offset0:102 offset1:165
	ds_read2_b32 v[58:59], v48 offset0:100 offset1:217
	;; [unrolled: 1-line block ×5, first 2 shown]
	v_add_u32_e32 v0, 0x400, v100
	ds_read2_b32 v[60:61], v0 offset0:50 offset1:113
	ds_read2_b32 v[66:67], v45 offset0:24 offset1:87
	;; [unrolled: 1-line block ×4, first 2 shown]
	ds_read_b32 v65, v100 offset:6336
	v_cmp_gt_u32_e64 s[0:1], 54, v114
	v_cmp_lt_u32_e64 s[2:3], 53, v114
                                        ; implicit-def: $vgpr38_vgpr39
	s_and_saveexec_b64 s[8:9], s[2:3]
	s_xor_b64 s[8:9], exec, s[8:9]
                                        ; implicit-def: $vgpr42_vgpr43
; %bb.14:
	v_mov_b32_e32 v43, v35
	v_mov_b64_e32 v[38:39], v[36:37]
; %bb.15:
	s_or_saveexec_b64 s[8:9], s[8:9]
                                        ; implicit-def: $vgpr40
	s_xor_b64 exec, exec, s[8:9]
	s_cbranch_execz .LBB0_17
; %bb.16:
	v_add_u32_e32 v0, 0x2e0, v100
	ds_read2_b32 v[30:31], v0 offset0:5 offset1:248
	v_add_u32_e32 v0, 0xa80, v100
	ds_read2_b32 v[34:35], v0 offset0:3 offset1:246
	;; [unrolled: 2-line block ×3, first 2 shown]
	ds_read_b32 v40, v100 offset:6588
	s_waitcnt lgkmcnt(3)
	v_mov_b32_e32 v38, v31
	v_mov_b32_e32 v36, v31
	s_waitcnt lgkmcnt(2)
	v_mov_b32_e32 v39, v35
	v_mov_b32_e32 v43, v34
	;; [unrolled: 3-line block ×3, first 2 shown]
.LBB0_17:
	s_or_b64 exec, exec, s[8:9]
	v_add_f32_e32 v0, v22, v62
	v_add_f32_e32 v31, v0, v92
	;; [unrolled: 1-line block ×3, first 2 shown]
	v_fma_f32 v22, -0.5, v0, v22
	v_sub_f32_e32 v0, v12, v82
	v_fmamk_f32 v33, v0, 0xbf5db3d7, v22
	v_fmac_f32_e32 v22, 0x3f5db3d7, v0
	v_add_f32_e32 v0, v23, v63
	v_add_f32_e32 v34, v0, v93
	;; [unrolled: 1-line block ×3, first 2 shown]
	v_fmac_f32_e32 v23, -0.5, v0
	v_sub_f32_e32 v0, v29, v72
	v_fmamk_f32 v29, v0, 0xbf5db3d7, v23
	v_fmac_f32_e32 v23, 0x3f5db3d7, v0
	v_add_f32_e32 v0, v20, v80
	v_add_f32_e32 v37, v0, v94
	;; [unrolled: 1-line block ×3, first 2 shown]
	v_fma_f32 v20, -0.5, v0, v20
	v_sub_f32_e32 v0, v44, v84
	v_fmamk_f32 v42, v0, 0xbf5db3d7, v20
	v_fmac_f32_e32 v20, 0x3f5db3d7, v0
	v_add_f32_e32 v0, v21, v98
	v_add_f32_e32 v52, v0, v91
	v_add_f32_e32 v0, v98, v91
	v_fmac_f32_e32 v21, -0.5, v0
	v_sub_f32_e32 v0, v85, v55
	v_fmamk_f32 v55, v0, 0xbf5db3d7, v21
	v_fmac_f32_e32 v21, 0x3f5db3d7, v0
	v_add_f32_e32 v0, v99, v86
	v_add_f32_e32 v62, v0, v95
	v_add_f32_e32 v0, v86, v95
	v_fmac_f32_e32 v99, -0.5, v0
	;; [unrolled: 7-line block ×4, first 2 shown]
	v_sub_f32_e32 v0, v54, v90
	v_fmamk_f32 v54, v0, 0xbf5db3d7, v10
	v_fmac_f32_e32 v10, 0x3f5db3d7, v0
	v_add_f32_e32 v0, v15, v1
	v_add_f32_e32 v4, v5, v15
	v_fmac_f32_e32 v5, -0.5, v0
	v_sub_f32_e32 v0, v18, v2
	v_mul_f32_e32 v45, 0x3f5db3d7, v0
	v_mov_b32_e32 v44, v1
	v_add_f32_e32 v1, v28, v81
	v_mov_b32_e32 v0, v5
	v_mov_b32_e32 v12, v45
	v_pk_add_f32 v[48:49], v[0:1], v[12:13] neg_lo:[0,1] neg_hi:[0,1]
	v_pk_add_f32 v[0:1], v[0:1], v[12:13]
	v_pk_add_f32 v[46:47], v[4:5], v[44:45]
	v_add_f32_e32 v0, v81, v13
	v_fmac_f32_e32 v28, -0.5, v0
	v_sub_f32_e32 v0, v27, v17
	v_fmamk_f32 v44, v0, 0xbf5db3d7, v28
	v_fmac_f32_e32 v28, 0x3f5db3d7, v0
	v_add_u32_e32 v0, 0xa00, v7
	s_waitcnt lgkmcnt(0)
	; wave barrier
	s_waitcnt lgkmcnt(0)
	ds_write2_b32 v100, v31, v33 offset1:81
	ds_write_b32 v100, v22 offset:648
	ds_write2_b32 v73, v34, v29 offset1:81
	ds_write_b32 v73, v23 offset:648
	;; [unrolled: 2-line block ×4, first 2 shown]
	ds_write2_b32 v0, v62, v63 offset0:89 offset1:170
	ds_write_b32 v7, v99 offset:3564
	ds_write2_b32 v101, v72, v53 offset1:81
	ds_write_b32 v101, v14 offset:648
	ds_write2_b32 v19, v80, v54 offset1:81
	;; [unrolled: 2-line block ×3, first 2 shown]
	ds_write_b32 v3, v47 offset:648
	v_add_u32_e32 v0, 0x1600, v16
	ds_write2_b32 v0, v1, v44 offset0:50 offset1:131
	ds_write_b32 v16, v28 offset:6480
	v_add_u32_e32 v0, 0x600, v100
	s_waitcnt lgkmcnt(0)
	; wave barrier
	s_waitcnt lgkmcnt(0)
	ds_read2_b32 v[92:93], v100 offset1:63
	ds_read2_b32 v[72:73], v100 offset0:126 offset1:243
	ds_read2_b32 v[98:99], v0 offset0:102 offset1:165
	v_add_u32_e32 v0, 0x800, v100
	ds_read2_b32 v[84:85], v0 offset0:100 offset1:217
	v_add_u32_e32 v0, 0xe00, v100
	;; [unrolled: 2-line block ×7, first 2 shown]
	ds_read2_b32 v[90:91], v0 offset0:126 offset1:189
	ds_read_b32 v89, v100 offset:6336
                                        ; implicit-def: $vgpr52_vgpr53
	s_and_saveexec_b64 s[8:9], s[2:3]
	s_xor_b64 s[2:3], exec, s[8:9]
	s_cbranch_execnz .LBB0_21
; %bb.18:
	s_or_saveexec_b64 s[2:3], s[2:3]
                                        ; implicit-def: $vgpr62
	s_xor_b64 exec, exec, s[2:3]
	s_cbranch_execnz .LBB0_22
.LBB0_19:
	s_or_b64 exec, exec, s[2:3]
	s_and_saveexec_b64 s[2:3], vcc
	s_cbranch_execnz .LBB0_23
.LBB0_20:
	s_endpgm
.LBB0_21:
	v_mov_b32_e32 v49, v1
	v_mov_b64_e32 v[52:53], v[48:49]
                                        ; implicit-def: $vgpr100
	s_or_saveexec_b64 s[2:3], s[2:3]
                                        ; implicit-def: $vgpr62
	s_xor_b64 exec, exec, s[2:3]
	s_cbranch_execz .LBB0_19
.LBB0_22:
	v_add_u32_e32 v0, 0x2e0, v100
	v_add_u32_e32 v2, 0xa80, v100
	ds_read2_b32 v[0:1], v0 offset0:5 offset1:248
	ds_read2_b32 v[2:3], v2 offset0:3 offset1:246
	v_add_u32_e32 v4, 0x1200, v100
	ds_read2_b32 v[44:45], v4 offset0:9 offset1:252
	ds_read_b32 v62, v100 offset:6588
	s_waitcnt lgkmcnt(3)
	v_mov_b32_e32 v52, v1
	s_waitcnt lgkmcnt(2)
	v_mov_b32_e32 v53, v3
	v_mov_b32_e32 v46, v0
	;; [unrolled: 1-line block ×3, first 2 shown]
	s_waitcnt lgkmcnt(1)
	v_mov_b32_e32 v28, v45
	v_mov_b32_e32 v48, v1
	s_or_b64 exec, exec, s[2:3]
	s_and_saveexec_b64 s[2:3], vcc
	s_cbranch_execz .LBB0_20
.LBB0_23:
	v_mul_u32_u24_e32 v0, 6, v64
	v_mul_u32_u24_e32 v11, 6, v114
	v_lshlrev_b32_e32 v10, 3, v0
	v_lshlrev_b32_e32 v11, 3, v11
	global_load_dwordx4 v[0:3], v10, s[4:5] offset:1920
	global_load_dwordx4 v[4:7], v10, s[4:5] offset:1952
	;; [unrolled: 1-line block ×5, first 2 shown]
	v_mov_b32_e32 v11, 0xfffffe86
	v_mov_b32_e32 v55, 0
	v_mad_u32_u24 v54, v64, 6, v11
	v_lshl_add_u64 v[20:21], v[54:55], 3, s[4:5]
	global_load_dwordx4 v[12:15], v[20:21], off offset:1920
	global_load_dwordx4 v[16:19], v[20:21], off offset:1952
	v_mul_lo_u32 v11, s7, v8
	v_mul_lo_u32 v9, s6, v9
	v_mad_u64_u32 v[22:23], s[2:3], s6, v8, 0
	v_add3_u32 v23, v23, v9, v11
	global_load_dwordx4 v[8:11], v10, s[4:5] offset:1936
	v_lshl_add_u64 v[102:103], v[22:23], 3, s[10:11]
	global_load_dwordx4 v[20:23], v[20:21], off offset:1936
	s_waitcnt lgkmcnt(5)
	v_mov_b32_e32 v100, v81
	v_mov_b32_e32 v101, v85
	v_mov_b32_e32 v34, v57
	v_mov_b32_e32 v126, v57
	v_mov_b32_e32 v127, v59
	v_mov_b32_e32 v128, v78
	v_mov_b32_e32 v129, v74
	s_mov_b32 s15, 0x86d90545
	s_mov_b32 s6, 0xbf08b237
	v_mul_hi_u32 v27, v114, s15
	s_mov_b32 s7, 0x3eae86e6
	s_mov_b32 s10, 0x3f4a47b2
	s_movk_i32 s3, 0xf3
	v_mov_b32_e32 v124, v70
	v_mov_b32_e32 v125, v92
	v_lshrrev_b32_e32 v27, 7, v27
	s_mov_b32 s8, s7
	s_mov_b32 s9, s6
	;; [unrolled: 1-line block ×3, first 2 shown]
	v_mul_lo_u32 v27, v27, s3
	s_mov_b32 s12, s11
	s_mov_b32 s13, s10
	;; [unrolled: 1-line block ×3, first 2 shown]
	v_sub_u32_e32 v27, v114, v27
	s_mov_b32 s2, 0x3ee1c552
	v_lshl_add_u64 v[24:25], v[24:25], 3, v[102:103]
	v_lshlrev_b32_e32 v54, 3, v27
	s_mov_b32 s14, 0x3f3bfb3b
	s_mov_b32 s16, 0x3f5ff5aa
	v_mov_b32_e32 v92, v71
	s_waitcnt lgkmcnt(2)
	v_mov_b32_e32 v88, v87
	s_waitcnt vmcnt(6)
	v_mul_f32_e32 v31, v73, v117
	v_mul_f32_e32 v37, v98, v119
	s_waitcnt vmcnt(5)
	v_mul_f32_e32 v45, v81, v111
	v_mul_f32_e32 v132, v51, v117
	;; [unrolled: 3-line block ×3, first 2 shown]
	v_mul_f32_e32 v139, v74, v123
	v_mul_f32_e32 v141, v94, v122
	v_mov_b32_e32 v42, v111
	v_mov_b32_e32 v142, v111
	;; [unrolled: 1-line block ×10, first 2 shown]
	v_fma_f32 v140, v51, v116, -v31
	v_fma_f32 v136, v78, v118, -v37
	v_fmac_f32_e32 v132, v73, v116
	v_pk_mul_f32 v[116:117], v[100:101], v[110:111]
	v_pk_mul_f32 v[118:119], v[122:123], v[118:119]
	v_pk_fma_f32 v[144:145], v[34:35], v[42:43], v[116:117]
	v_pk_fma_f32 v[116:117], v[126:127], v[142:143], v[116:117] neg_lo:[0,0,1] neg_hi:[0,0,1]
	v_pk_fma_f32 v[122:123], v[78:79], v[64:65], v[118:119]
	v_pk_fma_f32 v[118:119], v[128:129], v[120:121], v[118:119] neg_lo:[0,0,1] neg_hi:[0,0,1]
	v_mov_b32_e32 v145, v117
	v_mov_b32_e32 v123, v119
	v_mul_f32_e32 v33, v96, v113
	v_mul_f32_e32 v130, v76, v113
	v_fma_f32 v134, v57, v110, -v45
	v_pk_add_f32 v[120:121], v[122:123], v[144:145]
	v_pk_add_f32 v[122:123], v[122:123], v[144:145] neg_lo:[0,1] neg_hi:[0,1]
	v_fma_f32 v138, v76, v112, -v33
	v_fmac_f32_e32 v130, v96, v112
	v_sub_f32_e32 v131, v136, v134
	v_mov_b32_e32 v133, v123
	v_add_f32_e32 v127, v132, v130
	v_pk_add_f32 v[142:143], v[140:141], v[138:139]
	v_pk_add_f32 v[134:135], v[136:137], v[134:135]
	v_pk_add_f32 v[128:129], v[132:133], v[130:131] neg_lo:[0,1] neg_hi:[0,1]
	v_pk_add_f32 v[132:133], v[122:123], v[130:131]
	v_mov_b32_e32 v141, v138
	v_mov_b32_e32 v129, v133
	;; [unrolled: 1-line block ×5, first 2 shown]
	v_pk_add_f32 v[132:133], v[132:133], v[140:141] neg_lo:[0,1] neg_hi:[0,1]
	v_mov_b32_e32 v126, v119
	v_pk_add_f32 v[140:141], v[132:133], v[122:123]
	v_mov_b32_e32 v116, v117
	v_mov_b32_e32 v117, v120
	v_pk_add_f32 v[136:137], v[142:143], v[134:135]
	v_mov_b32_e32 v141, v133
	v_pk_add_f32 v[116:117], v[126:127], v[116:117]
	v_pk_add_f32 v[140:141], v[140:141], v[128:129]
	v_mov_b32_e32 v129, v123
	v_mov_b32_e32 v130, v132
	v_pk_add_f32 v[118:119], v[136:137], v[116:117]
	v_mov_b32_e32 v143, v137
	v_mov_b32_e32 v117, v120
	v_pk_add_f32 v[144:145], v[128:129], v[130:131] neg_lo:[0,1] neg_hi:[0,1]
	v_pk_add_f32 v[146:147], v[142:143], v[116:117] neg_lo:[0,1] neg_hi:[0,1]
	v_mov_b32_e32 v117, v127
	v_mov_b32_e32 v135, v137
	v_pk_add_f32 v[138:139], v[132:133], v[122:123] neg_lo:[0,1] neg_hi:[0,1]
	v_pk_mul_f32 v[144:145], v[144:145], s[8:9]
	v_pk_add_f32 v[124:125], v[124:125], v[118:119]
	v_pk_mul_f32 v[146:147], v[146:147], s[10:11]
	v_pk_add_f32 v[116:117], v[116:117], v[134:135] neg_lo:[0,1] neg_hi:[0,1]
	v_pk_fma_f32 v[118:119], v[118:119], s[18:19], v[124:125] op_sel_hi:[1,0,1] neg_lo:[1,0,0] neg_hi:[1,0,0]
	v_pk_fma_f32 v[136:137], v[116:117], s[12:13], v[146:147]
	v_pk_fma_f32 v[148:149], v[138:139], s[6:7], v[144:145]
	v_pk_add_f32 v[136:137], v[136:137], v[118:119]
	v_pk_fma_f32 v[148:149], v[140:141], s[2:3], v[148:149] op_sel_hi:[1,0,1]
	v_mov_b32_e32 v135, v120
	v_pk_add_f32 v[150:151], v[136:137], v[148:149]
	v_pk_add_f32 v[136:137], v[136:137], v[148:149] neg_lo:[0,1] neg_hi:[0,1]
	v_lshl_add_u64 v[148:149], v[24:25], 0, v[54:55]
	global_store_dwordx2 v[148:149], v[124:125], off
	v_mov_b32_e32 v124, v150
	v_mov_b32_e32 v125, v137
	;; [unrolled: 1-line block ×3, first 2 shown]
	global_store_dwordx2 v[148:149], v[124:125], off offset:1944
	v_pk_add_f32 v[124:125], v[134:135], v[142:143] neg_lo:[0,1] neg_hi:[0,1]
	v_pk_mul_f32 v[134:135], v[138:139], s[6:7]
	v_pk_mul_f32 v[116:117], v[116:117], s[12:13]
	v_mov_b32_e32 v123, v131
	v_mov_b32_e32 v129, v133
	v_pk_add_f32 v[122:123], v[122:123], v[128:129] neg_lo:[0,1] neg_hi:[0,1]
	v_mov_b32_e32 v129, v117
	v_mov_b32_e32 v130, v144
	v_mov_b32_e32 v131, v135
	v_mov_b32_e32 v135, v145
	v_mov_b32_e32 v117, v147
	v_mov_b32_e32 v128, v146
	v_pk_fma_f32 v[130:131], v[122:123], s[16:17], v[130:131] op_sel_hi:[1,0,1] neg_lo:[1,0,1] neg_hi:[1,0,1]
	v_pk_fma_f32 v[122:123], v[122:123], s[16:17], v[134:135] op_sel_hi:[1,0,1] neg_lo:[0,0,1] neg_hi:[0,0,1]
	;; [unrolled: 1-line block ×3, first 2 shown]
	v_mul_f32_e32 v27, v83, v1
	v_pk_fma_f32 v[128:129], v[124:125], s[14:15], v[128:129] op_sel_hi:[1,0,1] neg_lo:[1,0,1] neg_hi:[1,0,1]
	v_pk_fma_f32 v[122:123], v[140:141], s[2:3], v[122:123] op_sel_hi:[1,0,1]
	v_pk_add_f32 v[116:117], v[116:117], v[118:119]
	s_movk_i32 s17, 0x1000
	s_waitcnt lgkmcnt(0)
	v_mul_f32_e32 v29, v89, v7
	v_fma_f32 v107, v61, v0, -v27
	s_waitcnt vmcnt(5)
	v_mul_f32_e32 v27, v82, v13
	v_pk_add_f32 v[128:129], v[128:129], v[118:119]
	v_pk_add_f32 v[118:119], v[116:117], v[122:123] neg_lo:[0,1] neg_hi:[0,1]
	v_pk_add_f32 v[116:117], v[116:117], v[122:123]
	v_add_co_u32_e32 v124, vcc, s17, v148
	v_fma_f32 v109, v65, v6, -v29
	s_waitcnt vmcnt(4)
	v_mul_f32_e32 v29, v97, v19
	v_fma_f32 v111, v60, v12, -v27
	v_mov_b32_e32 v123, v117
	v_addc_co_u32_e32 v125, vcc, 0, v149, vcc
	v_mov_b32_e32 v117, v119
	s_movk_i32 s17, 0x2000
	v_add_u32_e32 v27, 63, v114
	v_fma_f32 v113, v77, v18, -v29
	global_store_dwordx2 v[124:125], v[116:117], off offset:3680
	v_add_co_u32_e32 v116, vcc, s17, v148
	v_mul_hi_u32 v29, v27, s15
	v_pk_fma_f32 v[130:131], v[140:141], s[2:3], v[130:131] op_sel_hi:[1,0,1]
	v_addc_co_u32_e32 v117, vcc, 0, v149, vcc
	v_mov_b32_e32 v137, v151
	v_lshrrev_b32_e32 v29, 7, v29
	v_mov_b32_e32 v138, v90
	v_mov_b32_e32 v139, v86
	;; [unrolled: 1-line block ×3, first 2 shown]
	s_waitcnt vmcnt(3)
	v_mov_b32_e32 v141, v20
	v_mul_f32_e32 v78, v68, v17
	v_pk_add_f32 v[132:133], v[128:129], v[130:131]
	v_pk_add_f32 v[128:129], v[128:129], v[130:131] neg_lo:[0,1] neg_hi:[0,1]
	global_store_dwordx2 v[116:117], v[136:137], off offset:3472
	v_mul_lo_u32 v31, v29, s3
	v_mov_b32_e32 v134, v68
	v_mov_b32_e32 v135, v66
	;; [unrolled: 1-line block ×4, first 2 shown]
	v_pk_mul_f32 v[138:139], v[138:139], v[140:141]
	v_mov_b32_e32 v96, v86
	v_mov_b32_e32 v142, v21
	;; [unrolled: 1-line block ×3, first 2 shown]
	v_fmac_f32_e32 v78, v90, v16
	v_mov_b32_e32 v131, v129
	v_mov_b32_e32 v129, v133
	v_sub_u32_e32 v34, v27, v31
	s_movk_i32 s17, 0x6a5
	v_pk_fma_f32 v[16:17], v[68:69], v[16:17], v[138:139] neg_lo:[0,0,1] neg_hi:[0,0,1]
	v_pk_fma_f32 v[134:135], v[134:135], v[136:137], v[138:139]
	v_mov_b32_e32 v94, v99
	v_mov_b32_e32 v138, v15
	;; [unrolled: 1-line block ×6, first 2 shown]
	v_pk_mul_f32 v[18:19], v[96:97], v[142:143]
	v_mul_f32_e32 v98, v79, v15
	global_store_dwordx2 v[116:117], v[128:129], off offset:1528
	v_mad_u64_u32 v[116:117], s[20:21], v29, s17, v[34:35]
	v_mov_b32_e32 v34, v79
	v_mov_b32_e32 v74, v79
	;; [unrolled: 1-line block ×4, first 2 shown]
	v_pk_mul_f32 v[138:139], v[94:95], v[138:139]
	v_pk_fma_f32 v[20:21], v[66:67], v[20:21], v[18:19] neg_lo:[0,0,1] neg_hi:[0,0,1]
	v_pk_fma_f32 v[18:19], v[76:77], v[140:141], v[18:19]
	v_mov_b32_e32 v76, v22
	v_mov_b32_e32 v94, v95
	;; [unrolled: 1-line block ×5, first 2 shown]
	v_fmac_f32_e32 v98, v99, v14
	v_pk_fma_f32 v[14:15], v[34:35], v[14:15], v[138:139] neg_lo:[0,0,1] neg_hi:[0,0,1]
	v_pk_fma_f32 v[136:137], v[74:75], v[136:137], v[138:139]
	v_mov_b32_e32 v74, v75
	v_mov_b32_e32 v75, v60
	;; [unrolled: 1-line block ×3, first 2 shown]
	v_pk_mul_f32 v[12:13], v[94:95], v[22:23]
	v_mov_b32_e32 v17, v135
	v_mov_b32_e32 v15, v137
	v_pk_fma_f32 v[22:23], v[74:75], v[76:77], v[12:13] neg_lo:[0,0,1] neg_hi:[0,0,1]
	v_pk_fma_f32 v[12:13], v[74:75], v[76:77], v[12:13]
	v_pk_add_f32 v[138:139], v[14:15], v[16:17] neg_lo:[0,1] neg_hi:[0,1]
	v_mov_b32_e32 v21, v19
	v_mov_b32_e32 v23, v13
	;; [unrolled: 1-line block ×4, first 2 shown]
	v_pk_add_f32 v[74:75], v[22:23], v[20:21]
	v_mov_b32_e32 v18, v19
	v_mov_b32_e32 v19, v20
	v_pk_add_f32 v[20:21], v[98:99], v[78:79] neg_lo:[0,1] neg_hi:[0,1]
	v_mov_b32_e32 v12, v13
	v_mov_b32_e32 v13, v138
	v_pk_add_f32 v[18:19], v[12:13], v[18:19] neg_lo:[0,1] neg_hi:[0,1]
	v_pk_add_f32 v[12:13], v[20:21], v[12:13]
	v_mov_b32_e32 v110, v137
	v_mov_b32_e32 v112, v135
	v_add_f32_e32 v121, v98, v78
	v_add_f32_e32 v126, v111, v113
	v_pk_add_f32 v[14:15], v[14:15], v[16:17]
	v_mov_b32_e32 v19, v13
	v_pk_add_f32 v[12:13], v[110:111], v[112:113] neg_lo:[0,1] neg_hi:[0,1]
	v_add_f32_e32 v77, v75, v121
	v_mov_b32_e32 v127, v15
	v_mov_b32_e32 v120, v74
	v_add_f32_e32 v140, v126, v14
	v_mov_b32_e32 v141, v15
	v_mov_b32_e32 v76, v74
	;; [unrolled: 1-line block ×6, first 2 shown]
	v_pk_add_f32 v[16:17], v[126:127], v[120:121] neg_lo:[0,1] neg_hi:[0,1]
	v_pk_add_f32 v[76:77], v[140:141], v[76:77]
	v_pk_add_f32 v[22:23], v[22:23], v[78:79] neg_lo:[0,1] neg_hi:[0,1]
	v_pk_add_f32 v[110:111], v[12:13], v[20:21]
	v_pk_mul_f32 v[16:17], v[16:17], s[10:11]
	v_pk_add_f32 v[94:95], v[74:75], v[14:15] neg_lo:[0,1] neg_hi:[0,1]
	v_pk_add_f32 v[92:93], v[92:93], v[76:77]
	v_pk_mul_f32 v[22:23], v[22:23], s[8:9]
	v_pk_add_f32 v[78:79], v[12:13], v[20:21] neg_lo:[0,1] neg_hi:[0,1]
	v_mov_b32_e32 v111, v13
	v_pk_mul_f32 v[96:97], v[94:95], s[12:13]
	v_pk_fma_f32 v[94:95], v[94:95], s[12:13], v[16:17]
	v_pk_fma_f32 v[76:77], v[76:77], s[18:19], v[92:93] op_sel_hi:[1,0,1] neg_lo:[1,0,0] neg_hi:[1,0,0]
	v_pk_mul_f32 v[98:99], v[78:79], s[6:7]
	v_pk_fma_f32 v[78:79], v[78:79], s[6:7], v[22:23]
	v_pk_add_f32 v[110:111], v[110:111], v[18:19]
	v_mov_b32_e32 v117, v55
	v_pk_add_f32 v[94:95], v[94:95], v[76:77]
	v_pk_fma_f32 v[78:79], v[110:111], s[2:3], v[78:79] op_sel_hi:[1,0,1]
	v_mov_b32_e32 v130, v132
	v_mov_b32_e32 v122, v118
	v_lshl_add_u64 v[118:119], v[116:117], 3, v[24:25]
	v_add_u32_e32 v54, 0xf3, v116
	v_pk_add_f32 v[112:113], v[94:95], v[78:79] neg_lo:[0,1] neg_hi:[0,1]
	v_pk_add_f32 v[78:79], v[94:95], v[78:79]
	global_store_dwordx2 v[148:149], v[130:131], off offset:3888
	global_store_dwordx2 v[124:125], v[122:123], off offset:1736
	v_lshl_add_u64 v[122:123], v[54:55], 3, v[24:25]
	global_store_dwordx2 v[118:119], v[92:93], off
	v_mov_b32_e32 v92, v78
	v_mov_b32_e32 v93, v113
	;; [unrolled: 1-line block ×4, first 2 shown]
	global_store_dwordx2 v[122:123], v[92:93], off
	v_mov_b32_e32 v92, v16
	v_mov_b32_e32 v93, v97
	v_pk_add_f32 v[14:15], v[14:15], v[126:127] neg_lo:[0,1] neg_hi:[0,1]
	v_mov_b32_e32 v97, v17
	v_pk_fma_f32 v[74:75], v[14:15], s[14:15], v[92:93] op_sel_hi:[1,0,1] neg_lo:[1,0,1] neg_hi:[1,0,1]
	v_pk_fma_f32 v[14:15], v[14:15], s[14:15], v[96:97] op_sel_hi:[1,0,1] neg_lo:[0,0,1] neg_hi:[0,0,1]
	v_pk_add_f32 v[74:75], v[74:75], v[76:77]
	v_pk_add_f32 v[14:15], v[14:15], v[76:77]
	v_mov_b32_e32 v86, v91
	v_mov_b32_e32 v76, v5
	;; [unrolled: 1-line block ×3, first 2 shown]
	v_mul_f32_e32 v102, v69, v5
	v_mov_b32_e32 v113, v79
	v_mov_b32_e32 v34, v69
	;; [unrolled: 1-line block ×5, first 2 shown]
	v_pk_mul_f32 v[76:77], v[86:87], v[76:77]
	v_mov_b32_e32 v85, v80
	v_mov_b32_e32 v78, v3
	;; [unrolled: 1-line block ×3, first 2 shown]
	v_mul_f32_e32 v104, v58, v3
	v_fmac_f32_e32 v102, v91, v4
	v_pk_fma_f32 v[4:5], v[34:35], v[4:5], v[76:77] neg_lo:[0,0,1] neg_hi:[0,0,1]
	v_pk_fma_f32 v[68:69], v[66:67], v[68:69], v[76:77]
	v_mov_b32_e32 v59, v56
	v_mov_b32_e32 v76, v2
	;; [unrolled: 1-line block ×3, first 2 shown]
	v_pk_mul_f32 v[78:79], v[84:85], v[78:79]
	v_fmac_f32_e32 v104, v84, v2
	v_mov_b32_e32 v21, v138
	v_mov_b32_e32 v19, v13
	v_pk_fma_f32 v[2:3], v[58:59], v[2:3], v[78:79] neg_lo:[0,0,1] neg_hi:[0,0,1]
	v_pk_fma_f32 v[58:59], v[58:59], v[76:77], v[78:79]
	v_mov_b32_e32 v78, v9
	v_mov_b32_e32 v79, v6
	;; [unrolled: 1-line block ×6, first 2 shown]
	v_pk_add_f32 v[12:13], v[20:21], v[18:19] neg_lo:[0,1] neg_hi:[0,1]
	v_mov_b32_e32 v18, v22
	v_mov_b32_e32 v19, v99
	;; [unrolled: 1-line block ×7, first 2 shown]
	v_pk_mul_f32 v[6:7], v[88:89], v[78:79]
	v_mov_b32_e32 v57, v61
	v_mov_b32_e32 v61, v1
	v_pk_mul_f32 v[0:1], v[80:81], v[10:11]
	v_pk_fma_f32 v[18:19], v[12:13], s[16:17], v[18:19] op_sel_hi:[1,0,1] neg_lo:[1,0,1] neg_hi:[1,0,1]
	v_pk_fma_f32 v[12:13], v[12:13], s[16:17], v[98:99] op_sel_hi:[1,0,1] neg_lo:[0,0,1] neg_hi:[0,0,1]
	v_mov_b32_e32 v5, v69
	v_mov_b32_e32 v3, v59
	v_pk_fma_f32 v[8:9], v[34:35], v[8:9], v[6:7] neg_lo:[0,0,1] neg_hi:[0,0,1]
	v_pk_fma_f32 v[6:7], v[64:65], v[66:67], v[6:7]
	v_pk_fma_f32 v[10:11], v[56:57], v[60:61], v[0:1] neg_lo:[0,0,1] neg_hi:[0,0,1]
	v_pk_fma_f32 v[0:1], v[56:57], v[60:61], v[0:1]
	v_pk_fma_f32 v[12:13], v[110:111], s[2:3], v[12:13] op_sel_hi:[1,0,1]
	v_pk_add_f32 v[76:77], v[2:3], v[4:5] neg_lo:[0,1] neg_hi:[0,1]
	v_mov_b32_e32 v9, v7
	v_mov_b32_e32 v11, v1
	;; [unrolled: 1-line block ×4, first 2 shown]
	v_pk_add_f32 v[16:17], v[14:15], v[12:13]
	v_pk_add_f32 v[12:13], v[14:15], v[12:13] neg_lo:[0,1] neg_hi:[0,1]
	v_pk_add_f32 v[56:57], v[10:11], v[8:9]
	v_mov_b32_e32 v6, v7
	v_mov_b32_e32 v7, v8
	v_pk_add_f32 v[8:9], v[104:105], v[102:103] neg_lo:[0,1] neg_hi:[0,1]
	v_mov_b32_e32 v0, v1
	v_mov_b32_e32 v1, v76
	v_add_u32_e32 v54, 0x1e6, v116
	v_mov_b32_e32 v14, v12
	v_add_u32_e32 v12, 0x7e, v114
	v_pk_add_f32 v[6:7], v[0:1], v[6:7] neg_lo:[0,1] neg_hi:[0,1]
	v_pk_add_f32 v[0:1], v[8:9], v[0:1]
	v_mov_b32_e32 v106, v59
	v_mov_b32_e32 v108, v69
	v_add_f32_e32 v101, v104, v102
	v_add_f32_e32 v70, v107, v109
	v_lshl_add_u64 v[124:125], v[54:55], 3, v[24:25]
	v_add_u32_e32 v54, 0x2d9, v116
	v_mov_b32_e32 v15, v17
	v_mov_b32_e32 v17, v13
	v_mul_hi_u32 v13, v12, s15
	v_pk_add_f32 v[2:3], v[2:3], v[4:5]
	v_mov_b32_e32 v7, v1
	v_pk_add_f32 v[0:1], v[106:107], v[108:109] neg_lo:[0,1] neg_hi:[0,1]
	v_lshl_add_u64 v[128:129], v[54:55], 3, v[24:25]
	v_lshrrev_b32_e32 v13, 7, v13
	v_add_f32_e32 v61, v57, v101
	v_mov_b32_e32 v71, v3
	v_mov_b32_e32 v100, v56
	v_add_f32_e32 v78, v70, v2
	v_mov_b32_e32 v79, v3
	v_mov_b32_e32 v60, v56
	;; [unrolled: 1-line block ×6, first 2 shown]
	global_store_dwordx2 v[128:129], v[14:15], off
	v_mul_lo_u32 v14, v13, s3
	v_pk_add_f32 v[4:5], v[70:71], v[100:101] neg_lo:[0,1] neg_hi:[0,1]
	v_pk_add_f32 v[60:61], v[78:79], v[60:61]
	v_mov_b32_e32 v51, v72
	v_pk_add_f32 v[10:11], v[10:11], v[58:59] neg_lo:[0,1] neg_hi:[0,1]
	v_pk_add_f32 v[72:73], v[0:1], v[8:9]
	v_add_u32_e32 v54, 0x3cc, v116
	v_sub_u32_e32 v12, v12, v14
	v_pk_mul_f32 v[4:5], v[4:5], s[10:11]
	v_pk_add_f32 v[64:65], v[56:57], v[2:3] neg_lo:[0,1] neg_hi:[0,1]
	v_pk_add_f32 v[50:51], v[50:51], v[60:61]
	v_pk_mul_f32 v[10:11], v[10:11], s[8:9]
	v_pk_add_f32 v[58:59], v[0:1], v[8:9] neg_lo:[0,1] neg_hi:[0,1]
	v_mov_b32_e32 v73, v1
	v_lshl_add_u64 v[130:131], v[54:55], 3, v[24:25]
	v_add_u32_e32 v54, 0x4bf, v116
	v_pk_fma_f32 v[18:19], v[110:111], s[2:3], v[18:19] op_sel_hi:[1,0,1]
	v_mad_u64_u32 v[12:13], s[20:21], v13, s17, v[12:13]
	v_pk_mul_f32 v[66:67], v[64:65], s[12:13]
	v_pk_fma_f32 v[64:65], v[64:65], s[12:13], v[4:5]
	v_pk_fma_f32 v[60:61], v[60:61], s[18:19], v[50:51] op_sel_hi:[1,0,1] neg_lo:[1,0,0] neg_hi:[1,0,0]
	v_pk_mul_f32 v[68:69], v[58:59], s[6:7]
	v_pk_fma_f32 v[58:59], v[58:59], s[6:7], v[10:11]
	v_pk_add_f32 v[72:73], v[72:73], v[6:7]
	v_lshl_add_u64 v[132:133], v[54:55], 3, v[24:25]
	v_add_u32_e32 v54, 0x5b2, v116
	v_pk_add_f32 v[20:21], v[74:75], v[18:19] neg_lo:[0,1] neg_hi:[0,1]
	v_pk_add_f32 v[18:19], v[74:75], v[18:19]
	v_mov_b32_e32 v13, v55
	v_pk_add_f32 v[64:65], v[64:65], v[60:61]
	v_pk_fma_f32 v[58:59], v[72:73], s[2:3], v[58:59] op_sel_hi:[1,0,1]
	v_lshl_add_u64 v[116:117], v[54:55], 3, v[24:25]
	v_mov_b32_e32 v74, v18
	v_mov_b32_e32 v75, v21
	;; [unrolled: 1-line block ×3, first 2 shown]
	v_lshl_add_u64 v[14:15], v[12:13], 3, v[24:25]
	v_add_u32_e32 v54, 0xf3, v12
	v_pk_add_f32 v[78:79], v[64:65], v[58:59] neg_lo:[0,1] neg_hi:[0,1]
	v_pk_add_f32 v[58:59], v[64:65], v[58:59]
	global_store_dwordx2 v[124:125], v[74:75], off
	global_store_dwordx2 v[130:131], v[16:17], off
	;; [unrolled: 1-line block ×4, first 2 shown]
	v_lshl_add_u64 v[16:17], v[54:55], 3, v[24:25]
	global_store_dwordx2 v[14:15], v[50:51], off
	v_mov_b32_e32 v14, v58
	v_mov_b32_e32 v15, v79
	;; [unrolled: 1-line block ×6, first 2 shown]
	v_add_u32_e32 v54, 0x1e6, v12
	global_store_dwordx2 v[16:17], v[14:15], off
	v_mov_b32_e32 v14, v4
	v_mov_b32_e32 v15, v67
	v_pk_add_f32 v[2:3], v[2:3], v[70:71] neg_lo:[0,1] neg_hi:[0,1]
	v_pk_add_f32 v[0:1], v[8:9], v[6:7] neg_lo:[0,1] neg_hi:[0,1]
	v_mov_b32_e32 v6, v10
	v_mov_b32_e32 v7, v69
	;; [unrolled: 1-line block ×4, first 2 shown]
	v_lshl_add_u64 v[18:19], v[54:55], 3, v[24:25]
	v_add_u32_e32 v54, 0x2d9, v12
	v_pk_fma_f32 v[14:15], v[2:3], s[14:15], v[14:15] op_sel_hi:[1,0,1] neg_lo:[1,0,1] neg_hi:[1,0,1]
	v_pk_fma_f32 v[6:7], v[0:1], s[16:17], v[6:7] op_sel_hi:[1,0,1] neg_lo:[1,0,1] neg_hi:[1,0,1]
	;; [unrolled: 1-line block ×4, first 2 shown]
	v_lshl_add_u64 v[20:21], v[54:55], 3, v[24:25]
	v_add_u32_e32 v54, 0x3cc, v12
	v_pk_fma_f32 v[0:1], v[72:73], s[2:3], v[0:1] op_sel_hi:[1,0,1]
	v_pk_add_f32 v[2:3], v[2:3], v[60:61]
	v_lshl_add_u64 v[22:23], v[54:55], 3, v[24:25]
	v_add_u32_e32 v54, 0x4bf, v12
	v_pk_add_f32 v[14:15], v[14:15], v[60:61]
	v_pk_fma_f32 v[6:7], v[72:73], s[2:3], v[6:7] op_sel_hi:[1,0,1]
	v_pk_add_f32 v[4:5], v[2:3], v[0:1]
	v_pk_add_f32 v[0:1], v[2:3], v[0:1] neg_lo:[0,1] neg_hi:[0,1]
	v_lshl_add_u64 v[74:75], v[54:55], 3, v[24:25]
	v_add_u32_e32 v54, 0x5b2, v12
	v_pk_add_f32 v[8:9], v[14:15], v[6:7] neg_lo:[0,1] neg_hi:[0,1]
	v_pk_add_f32 v[6:7], v[14:15], v[6:7]
	v_mov_b32_e32 v2, v0
	v_add_u32_e32 v0, 0xbd, v114
	v_lshl_add_u64 v[12:13], v[54:55], 3, v[24:25]
	v_mov_b32_e32 v14, v6
	v_mov_b32_e32 v15, v9
	;; [unrolled: 1-line block ×6, first 2 shown]
	v_cmp_gt_u32_e32 vcc, s3, v0
	global_store_dwordx2 v[18:19], v[14:15], off
	global_store_dwordx2 v[20:21], v[2:3], off
	;; [unrolled: 1-line block ×5, first 2 shown]
	s_and_b64 exec, exec, vcc
	s_cbranch_execz .LBB0_20
; %bb.24:
	v_subrev_u32_e32 v1, 54, v114
	v_cndmask_b32_e64 v1, v1, v41, s[0:1]
	v_mul_i32_i24_e32 v54, 6, v1
	v_lshl_add_u64 v[14:15], v[54:55], 3, s[4:5]
	global_load_dwordx4 v[2:5], v[14:15], off offset:1920
	global_load_dwordx4 v[6:9], v[14:15], off offset:1936
	;; [unrolled: 1-line block ×3, first 2 shown]
	v_mov_b32_e32 v63, v44
	v_mov_b32_e32 v14, v43
	v_mov_b32_e32 v15, v39
	v_mov_b32_e32 v19, v47
	v_mov_b32_e32 v45, v28
	v_mov_b32_e32 v31, v46
	v_mov_b32_e32 v41, v32
	v_mov_b32_e32 v16, v53
	v_mov_b32_e32 v18, v53
	v_mov_b32_e32 v33, v26
	s_mov_b32 s0, 0xbf955555
	v_add_u32_e32 v54, 0x1b0, v114
	s_waitcnt vmcnt(2)
	v_mov_b32_e32 v20, v5
	s_waitcnt vmcnt(1)
	v_mov_b32_e32 v21, v6
	v_mov_b32_e32 v22, v9
	s_waitcnt vmcnt(0)
	v_mov_b32_e32 v23, v10
	v_mul_f32_e32 v1, v28, v11
	v_mul_f32_e32 v28, v40, v13
	;; [unrolled: 1-line block ×3, first 2 shown]
	v_mov_b32_e32 v46, v3
	v_mov_b32_e32 v47, v6
	;; [unrolled: 1-line block ×4, first 2 shown]
	v_mul_f32_e32 v34, v36, v3
	v_mov_b32_e32 v36, v7
	v_mov_b32_e32 v42, v7
	;; [unrolled: 1-line block ×6, first 2 shown]
	v_fmac_f32_e32 v28, v62, v12
	v_pk_mul_f32 v[12:13], v[14:15], v[20:21]
	v_pk_mul_f32 v[14:15], v[52:53], v[46:47]
	v_fma_f32 v17, v26, v10, -v1
	v_pk_mul_f32 v[20:21], v[44:45], v[22:23]
	v_mov_b32_e32 v10, v8
	v_pk_mul_f32 v[22:23], v[62:63], v[50:51]
	v_fmac_f32_e32 v34, v48, v2
	v_pk_fma_f32 v[36:37], v[16:17], v[36:37], v[12:13] op_sel:[0,0,1] op_sel_hi:[1,1,0] neg_lo:[1,0,0] neg_hi:[1,0,0]
	v_pk_fma_f32 v[12:13], v[18:19], v[42:43], v[12:13] op_sel:[0,0,1] op_sel_hi:[1,1,0]
	v_pk_fma_f32 v[18:19], v[38:39], v[2:3], v[14:15] neg_lo:[0,0,1] neg_hi:[0,0,1]
	v_pk_fma_f32 v[2:3], v[38:39], v[2:3], v[14:15]
	v_pk_fma_f32 v[8:9], v[32:33], v[8:9], v[20:21] op_sel_hi:[0,1,1] neg_lo:[0,0,1] neg_hi:[0,0,1]
	v_pk_fma_f32 v[10:11], v[32:33], v[10:11], v[20:21]
	v_pk_fma_f32 v[14:15], v[40:41], v[6:7], v[22:23] neg_lo:[0,0,1] neg_hi:[0,0,1]
	v_pk_fma_f32 v[6:7], v[40:41], v[6:7], v[22:23]
	v_fma_f32 v5, v35, v4, -v5
	v_mov_b32_e32 v37, v13
	v_mov_b32_e32 v19, v3
	;; [unrolled: 1-line block ×12, first 2 shown]
	v_add_f32_e32 v27, v34, v28
	v_add_f32_e32 v2, v5, v17
	v_pk_add_f32 v[12:13], v[34:35], v[28:29] neg_lo:[0,1] neg_hi:[0,1]
	v_pk_add_f32 v[4:5], v[4:5], v[16:17] neg_lo:[0,1] neg_hi:[0,1]
	v_pk_add_f32 v[8:9], v[36:37], v[8:9]
	v_pk_add_f32 v[14:15], v[18:19], v[14:15]
	v_pk_add_f32 v[6:7], v[6:7], v[10:11] neg_lo:[0,1] neg_hi:[0,1]
	v_add_f32_e32 v10, v2, v14
	v_add_f32_e32 v17, v9, v27
	v_mov_b32_e32 v26, v8
	v_mov_b32_e32 v3, v15
	v_pk_add_f32 v[20:21], v[6:7], v[4:5]
	v_mov_b32_e32 v22, v6
	v_mov_b32_e32 v23, v13
	;; [unrolled: 1-line block ×9, first 2 shown]
	v_pk_add_f32 v[18:19], v[14:15], v[8:9] neg_lo:[0,1] neg_hi:[0,1]
	v_pk_add_f32 v[34:35], v[26:27], v[2:3] neg_lo:[0,1] neg_hi:[0,1]
	;; [unrolled: 1-line block ×4, first 2 shown]
	v_pk_add_f32 v[10:11], v[10:11], v[16:17]
	v_pk_add_f32 v[16:17], v[20:21], v[12:13]
	;; [unrolled: 1-line block ×3, first 2 shown]
	v_pk_mul_f32 v[28:29], v[34:35], s[12:13]
	v_pk_mul_f32 v[30:31], v[18:19], s[10:11]
	;; [unrolled: 1-line block ×4, first 2 shown]
	v_mov_b32_e32 v3, v9
	v_mov_b32_e32 v15, v27
	v_pk_fma_f32 v[10:11], v[10:11], s[0:1], v[20:21] op_sel_hi:[1,0,1]
	v_pk_fma_f32 v[18:19], v[18:19], s[10:11], v[28:29]
	v_pk_fma_f32 v[6:7], v[6:7], s[8:9], v[22:23]
	v_pk_add_f32 v[2:3], v[2:3], v[14:15] neg_lo:[0,1] neg_hi:[0,1]
	v_pk_add_f32 v[4:5], v[4:5], v[12:13] neg_lo:[0,1] neg_hi:[0,1]
	v_mov_b32_e32 v8, v30
	v_mov_b32_e32 v9, v29
	;; [unrolled: 1-line block ×6, first 2 shown]
	v_pk_add_f32 v[18:19], v[18:19], v[10:11]
	v_pk_fma_f32 v[6:7], v[16:17], s[2:3], v[6:7] op_sel_hi:[1,0,1]
	v_pk_fma_f32 v[8:9], v[2:3], s[14:15], v[8:9] op_sel_hi:[1,0,1] neg_lo:[1,0,1] neg_hi:[1,0,1]
	v_pk_fma_f32 v[12:13], v[4:5], s[16:17], v[12:13] op_sel_hi:[1,0,1] neg_lo:[1,0,1] neg_hi:[1,0,1]
	;; [unrolled: 1-line block ×4, first 2 shown]
	v_mov_b32_e32 v1, v55
	v_pk_add_f32 v[8:9], v[8:9], v[10:11]
	v_pk_add_f32 v[2:3], v[2:3], v[10:11]
	v_pk_fma_f32 v[4:5], v[16:17], s[2:3], v[4:5] op_sel_hi:[1,0,1]
	v_pk_fma_f32 v[10:11], v[16:17], s[2:3], v[12:13] op_sel_hi:[1,0,1]
	v_pk_add_f32 v[12:13], v[18:19], v[6:7]
	v_pk_add_f32 v[6:7], v[18:19], v[6:7] neg_lo:[0,1] neg_hi:[0,1]
	v_lshl_add_u64 v[0:1], v[0:1], 3, v[24:25]
	v_pk_add_f32 v[14:15], v[8:9], v[10:11]
	v_pk_add_f32 v[8:9], v[8:9], v[10:11] neg_lo:[0,1] neg_hi:[0,1]
	v_pk_add_f32 v[10:11], v[2:3], v[4:5] neg_lo:[0,1] neg_hi:[0,1]
	v_pk_add_f32 v[2:3], v[2:3], v[4:5]
	global_store_dwordx2 v[0:1], v[20:21], off
	v_lshl_add_u64 v[0:1], v[54:55], 3, v[24:25]
	v_mov_b32_e32 v4, v12
	v_mov_b32_e32 v5, v7
	v_add_u32_e32 v54, 0x2a3, v114
	global_store_dwordx2 v[0:1], v[4:5], off
	v_lshl_add_u64 v[0:1], v[54:55], 3, v[24:25]
	v_mov_b32_e32 v4, v14
	v_mov_b32_e32 v5, v9
	v_add_u32_e32 v54, 0x396, v114
	;; [unrolled: 5-line block ×3, first 2 shown]
	global_store_dwordx2 v[0:1], v[4:5], off
	v_lshl_add_u64 v[0:1], v[54:55], 3, v[24:25]
	v_mov_b32_e32 v3, v11
	v_add_u32_e32 v54, 0x57c, v114
	global_store_dwordx2 v[0:1], v[2:3], off
	v_lshl_add_u64 v[0:1], v[54:55], 3, v[24:25]
	v_mov_b32_e32 v9, v15
	v_add_u32_e32 v54, 0x66f, v114
	global_store_dwordx2 v[0:1], v[8:9], off
	v_lshl_add_u64 v[0:1], v[54:55], 3, v[24:25]
	v_mov_b32_e32 v7, v13
	global_store_dwordx2 v[0:1], v[6:7], off
	s_endpgm
	.section	.rodata,"a",@progbits
	.p2align	6, 0x0
	.amdhsa_kernel fft_rtc_fwd_len1701_factors_3_3_3_3_3_7_wgs_63_tpt_63_halfLds_sp_op_CI_CI_unitstride_sbrr_dirReg
		.amdhsa_group_segment_fixed_size 0
		.amdhsa_private_segment_fixed_size 0
		.amdhsa_kernarg_size 104
		.amdhsa_user_sgpr_count 2
		.amdhsa_user_sgpr_dispatch_ptr 0
		.amdhsa_user_sgpr_queue_ptr 0
		.amdhsa_user_sgpr_kernarg_segment_ptr 1
		.amdhsa_user_sgpr_dispatch_id 0
		.amdhsa_user_sgpr_kernarg_preload_length 0
		.amdhsa_user_sgpr_kernarg_preload_offset 0
		.amdhsa_user_sgpr_private_segment_size 0
		.amdhsa_uses_dynamic_stack 0
		.amdhsa_enable_private_segment 0
		.amdhsa_system_sgpr_workgroup_id_x 1
		.amdhsa_system_sgpr_workgroup_id_y 0
		.amdhsa_system_sgpr_workgroup_id_z 0
		.amdhsa_system_sgpr_workgroup_info 0
		.amdhsa_system_vgpr_workitem_id 0
		.amdhsa_next_free_vgpr 152
		.amdhsa_next_free_sgpr 28
		.amdhsa_accum_offset 152
		.amdhsa_reserve_vcc 1
		.amdhsa_float_round_mode_32 0
		.amdhsa_float_round_mode_16_64 0
		.amdhsa_float_denorm_mode_32 3
		.amdhsa_float_denorm_mode_16_64 3
		.amdhsa_dx10_clamp 1
		.amdhsa_ieee_mode 1
		.amdhsa_fp16_overflow 0
		.amdhsa_tg_split 0
		.amdhsa_exception_fp_ieee_invalid_op 0
		.amdhsa_exception_fp_denorm_src 0
		.amdhsa_exception_fp_ieee_div_zero 0
		.amdhsa_exception_fp_ieee_overflow 0
		.amdhsa_exception_fp_ieee_underflow 0
		.amdhsa_exception_fp_ieee_inexact 0
		.amdhsa_exception_int_div_zero 0
	.end_amdhsa_kernel
	.text
.Lfunc_end0:
	.size	fft_rtc_fwd_len1701_factors_3_3_3_3_3_7_wgs_63_tpt_63_halfLds_sp_op_CI_CI_unitstride_sbrr_dirReg, .Lfunc_end0-fft_rtc_fwd_len1701_factors_3_3_3_3_3_7_wgs_63_tpt_63_halfLds_sp_op_CI_CI_unitstride_sbrr_dirReg
                                        ; -- End function
	.section	.AMDGPU.csdata,"",@progbits
; Kernel info:
; codeLenInByte = 17000
; NumSgprs: 34
; NumVgprs: 152
; NumAgprs: 0
; TotalNumVgprs: 152
; ScratchSize: 0
; MemoryBound: 0
; FloatMode: 240
; IeeeMode: 1
; LDSByteSize: 0 bytes/workgroup (compile time only)
; SGPRBlocks: 4
; VGPRBlocks: 18
; NumSGPRsForWavesPerEU: 34
; NumVGPRsForWavesPerEU: 152
; AccumOffset: 152
; Occupancy: 3
; WaveLimiterHint : 1
; COMPUTE_PGM_RSRC2:SCRATCH_EN: 0
; COMPUTE_PGM_RSRC2:USER_SGPR: 2
; COMPUTE_PGM_RSRC2:TRAP_HANDLER: 0
; COMPUTE_PGM_RSRC2:TGID_X_EN: 1
; COMPUTE_PGM_RSRC2:TGID_Y_EN: 0
; COMPUTE_PGM_RSRC2:TGID_Z_EN: 0
; COMPUTE_PGM_RSRC2:TIDIG_COMP_CNT: 0
; COMPUTE_PGM_RSRC3_GFX90A:ACCUM_OFFSET: 37
; COMPUTE_PGM_RSRC3_GFX90A:TG_SPLIT: 0
	.text
	.p2alignl 6, 3212836864
	.fill 256, 4, 3212836864
	.type	__hip_cuid_e59c4a4828a5ea9d,@object ; @__hip_cuid_e59c4a4828a5ea9d
	.section	.bss,"aw",@nobits
	.globl	__hip_cuid_e59c4a4828a5ea9d
__hip_cuid_e59c4a4828a5ea9d:
	.byte	0                               ; 0x0
	.size	__hip_cuid_e59c4a4828a5ea9d, 1

	.ident	"AMD clang version 19.0.0git (https://github.com/RadeonOpenCompute/llvm-project roc-6.4.0 25133 c7fe45cf4b819c5991fe208aaa96edf142730f1d)"
	.section	".note.GNU-stack","",@progbits
	.addrsig
	.addrsig_sym __hip_cuid_e59c4a4828a5ea9d
	.amdgpu_metadata
---
amdhsa.kernels:
  - .agpr_count:     0
    .args:
      - .actual_access:  read_only
        .address_space:  global
        .offset:         0
        .size:           8
        .value_kind:     global_buffer
      - .offset:         8
        .size:           8
        .value_kind:     by_value
      - .actual_access:  read_only
        .address_space:  global
        .offset:         16
        .size:           8
        .value_kind:     global_buffer
      - .actual_access:  read_only
        .address_space:  global
        .offset:         24
        .size:           8
        .value_kind:     global_buffer
      - .actual_access:  read_only
        .address_space:  global
        .offset:         32
        .size:           8
        .value_kind:     global_buffer
      - .offset:         40
        .size:           8
        .value_kind:     by_value
      - .actual_access:  read_only
        .address_space:  global
        .offset:         48
        .size:           8
        .value_kind:     global_buffer
      - .actual_access:  read_only
        .address_space:  global
        .offset:         56
        .size:           8
        .value_kind:     global_buffer
      - .offset:         64
        .size:           4
        .value_kind:     by_value
      - .actual_access:  read_only
        .address_space:  global
        .offset:         72
        .size:           8
        .value_kind:     global_buffer
      - .actual_access:  read_only
        .address_space:  global
        .offset:         80
        .size:           8
        .value_kind:     global_buffer
      - .actual_access:  read_only
        .address_space:  global
        .offset:         88
        .size:           8
        .value_kind:     global_buffer
      - .actual_access:  write_only
        .address_space:  global
        .offset:         96
        .size:           8
        .value_kind:     global_buffer
    .group_segment_fixed_size: 0
    .kernarg_segment_align: 8
    .kernarg_segment_size: 104
    .language:       OpenCL C
    .language_version:
      - 2
      - 0
    .max_flat_workgroup_size: 63
    .name:           fft_rtc_fwd_len1701_factors_3_3_3_3_3_7_wgs_63_tpt_63_halfLds_sp_op_CI_CI_unitstride_sbrr_dirReg
    .private_segment_fixed_size: 0
    .sgpr_count:     34
    .sgpr_spill_count: 0
    .symbol:         fft_rtc_fwd_len1701_factors_3_3_3_3_3_7_wgs_63_tpt_63_halfLds_sp_op_CI_CI_unitstride_sbrr_dirReg.kd
    .uniform_work_group_size: 1
    .uses_dynamic_stack: false
    .vgpr_count:     152
    .vgpr_spill_count: 0
    .wavefront_size: 64
amdhsa.target:   amdgcn-amd-amdhsa--gfx950
amdhsa.version:
  - 1
  - 2
...

	.end_amdgpu_metadata
